;; amdgpu-corpus repo=ROCm/rocFFT kind=compiled arch=gfx906 opt=O3
	.text
	.amdgcn_target "amdgcn-amd-amdhsa--gfx906"
	.amdhsa_code_object_version 6
	.protected	fft_rtc_fwd_len1728_factors_3_6_6_16_wgs_108_tpt_108_halfLds_half_ip_CI_unitstride_sbrr_R2C_dirReg ; -- Begin function fft_rtc_fwd_len1728_factors_3_6_6_16_wgs_108_tpt_108_halfLds_half_ip_CI_unitstride_sbrr_R2C_dirReg
	.globl	fft_rtc_fwd_len1728_factors_3_6_6_16_wgs_108_tpt_108_halfLds_half_ip_CI_unitstride_sbrr_R2C_dirReg
	.p2align	8
	.type	fft_rtc_fwd_len1728_factors_3_6_6_16_wgs_108_tpt_108_halfLds_half_ip_CI_unitstride_sbrr_R2C_dirReg,@function
fft_rtc_fwd_len1728_factors_3_6_6_16_wgs_108_tpt_108_halfLds_half_ip_CI_unitstride_sbrr_R2C_dirReg: ; @fft_rtc_fwd_len1728_factors_3_6_6_16_wgs_108_tpt_108_halfLds_half_ip_CI_unitstride_sbrr_R2C_dirReg
; %bb.0:
	s_load_dwordx2 s[2:3], s[4:5], 0x50
	s_load_dwordx4 s[8:11], s[4:5], 0x0
	s_load_dwordx2 s[12:13], s[4:5], 0x18
	v_mul_u32_u24_e32 v1, 0x25f, v0
	v_add_u32_sdwa v5, s6, v1 dst_sel:DWORD dst_unused:UNUSED_PAD src0_sel:DWORD src1_sel:WORD_1
	v_mov_b32_e32 v3, 0
	s_waitcnt lgkmcnt(0)
	v_cmp_lt_u64_e64 s[0:1], s[10:11], 2
	v_mov_b32_e32 v1, 0
	v_mov_b32_e32 v6, v3
	s_and_b64 vcc, exec, s[0:1]
	v_mov_b32_e32 v2, 0
	s_cbranch_vccnz .LBB0_8
; %bb.1:
	s_load_dwordx2 s[0:1], s[4:5], 0x10
	s_add_u32 s6, s12, 8
	s_addc_u32 s7, s13, 0
	v_mov_b32_e32 v1, 0
	v_mov_b32_e32 v2, 0
	s_waitcnt lgkmcnt(0)
	s_add_u32 s14, s0, 8
	s_addc_u32 s15, s1, 0
	s_mov_b64 s[16:17], 1
.LBB0_2:                                ; =>This Inner Loop Header: Depth=1
	s_load_dwordx2 s[18:19], s[14:15], 0x0
                                        ; implicit-def: $vgpr7_vgpr8
	s_waitcnt lgkmcnt(0)
	v_or_b32_e32 v4, s19, v6
	v_cmp_ne_u64_e32 vcc, 0, v[3:4]
	s_and_saveexec_b64 s[0:1], vcc
	s_xor_b64 s[20:21], exec, s[0:1]
	s_cbranch_execz .LBB0_4
; %bb.3:                                ;   in Loop: Header=BB0_2 Depth=1
	v_cvt_f32_u32_e32 v4, s18
	v_cvt_f32_u32_e32 v7, s19
	s_sub_u32 s0, 0, s18
	s_subb_u32 s1, 0, s19
	v_mac_f32_e32 v4, 0x4f800000, v7
	v_rcp_f32_e32 v4, v4
	v_mul_f32_e32 v4, 0x5f7ffffc, v4
	v_mul_f32_e32 v7, 0x2f800000, v4
	v_trunc_f32_e32 v7, v7
	v_mac_f32_e32 v4, 0xcf800000, v7
	v_cvt_u32_f32_e32 v7, v7
	v_cvt_u32_f32_e32 v4, v4
	v_mul_lo_u32 v8, s0, v7
	v_mul_hi_u32 v9, s0, v4
	v_mul_lo_u32 v11, s1, v4
	v_mul_lo_u32 v10, s0, v4
	v_add_u32_e32 v8, v9, v8
	v_add_u32_e32 v8, v8, v11
	v_mul_hi_u32 v9, v4, v10
	v_mul_lo_u32 v11, v4, v8
	v_mul_hi_u32 v13, v4, v8
	v_mul_hi_u32 v12, v7, v10
	v_mul_lo_u32 v10, v7, v10
	v_mul_hi_u32 v14, v7, v8
	v_add_co_u32_e32 v9, vcc, v9, v11
	v_addc_co_u32_e32 v11, vcc, 0, v13, vcc
	v_mul_lo_u32 v8, v7, v8
	v_add_co_u32_e32 v9, vcc, v9, v10
	v_addc_co_u32_e32 v9, vcc, v11, v12, vcc
	v_addc_co_u32_e32 v10, vcc, 0, v14, vcc
	v_add_co_u32_e32 v8, vcc, v9, v8
	v_addc_co_u32_e32 v9, vcc, 0, v10, vcc
	v_add_co_u32_e32 v4, vcc, v4, v8
	v_addc_co_u32_e32 v7, vcc, v7, v9, vcc
	v_mul_lo_u32 v8, s0, v7
	v_mul_hi_u32 v9, s0, v4
	v_mul_lo_u32 v10, s1, v4
	v_mul_lo_u32 v11, s0, v4
	v_add_u32_e32 v8, v9, v8
	v_add_u32_e32 v8, v8, v10
	v_mul_lo_u32 v12, v4, v8
	v_mul_hi_u32 v13, v4, v11
	v_mul_hi_u32 v14, v4, v8
	;; [unrolled: 1-line block ×3, first 2 shown]
	v_mul_lo_u32 v11, v7, v11
	v_mul_hi_u32 v9, v7, v8
	v_add_co_u32_e32 v12, vcc, v13, v12
	v_addc_co_u32_e32 v13, vcc, 0, v14, vcc
	v_mul_lo_u32 v8, v7, v8
	v_add_co_u32_e32 v11, vcc, v12, v11
	v_addc_co_u32_e32 v10, vcc, v13, v10, vcc
	v_addc_co_u32_e32 v9, vcc, 0, v9, vcc
	v_add_co_u32_e32 v8, vcc, v10, v8
	v_addc_co_u32_e32 v9, vcc, 0, v9, vcc
	v_add_co_u32_e32 v4, vcc, v4, v8
	v_addc_co_u32_e32 v9, vcc, v7, v9, vcc
	v_mad_u64_u32 v[7:8], s[0:1], v5, v9, 0
	v_mul_hi_u32 v10, v5, v4
	v_add_co_u32_e32 v11, vcc, v10, v7
	v_addc_co_u32_e32 v12, vcc, 0, v8, vcc
	v_mad_u64_u32 v[7:8], s[0:1], v6, v4, 0
	v_mad_u64_u32 v[9:10], s[0:1], v6, v9, 0
	v_add_co_u32_e32 v4, vcc, v11, v7
	v_addc_co_u32_e32 v4, vcc, v12, v8, vcc
	v_addc_co_u32_e32 v7, vcc, 0, v10, vcc
	v_add_co_u32_e32 v4, vcc, v4, v9
	v_addc_co_u32_e32 v9, vcc, 0, v7, vcc
	v_mul_lo_u32 v10, s19, v4
	v_mul_lo_u32 v11, s18, v9
	v_mad_u64_u32 v[7:8], s[0:1], s18, v4, 0
	v_add3_u32 v8, v8, v11, v10
	v_sub_u32_e32 v10, v6, v8
	v_mov_b32_e32 v11, s19
	v_sub_co_u32_e32 v7, vcc, v5, v7
	v_subb_co_u32_e64 v10, s[0:1], v10, v11, vcc
	v_subrev_co_u32_e64 v11, s[0:1], s18, v7
	v_subbrev_co_u32_e64 v10, s[0:1], 0, v10, s[0:1]
	v_cmp_le_u32_e64 s[0:1], s19, v10
	v_cndmask_b32_e64 v12, 0, -1, s[0:1]
	v_cmp_le_u32_e64 s[0:1], s18, v11
	v_cndmask_b32_e64 v11, 0, -1, s[0:1]
	v_cmp_eq_u32_e64 s[0:1], s19, v10
	v_cndmask_b32_e64 v10, v12, v11, s[0:1]
	v_add_co_u32_e64 v11, s[0:1], 2, v4
	v_addc_co_u32_e64 v12, s[0:1], 0, v9, s[0:1]
	v_add_co_u32_e64 v13, s[0:1], 1, v4
	v_addc_co_u32_e64 v14, s[0:1], 0, v9, s[0:1]
	v_subb_co_u32_e32 v8, vcc, v6, v8, vcc
	v_cmp_ne_u32_e64 s[0:1], 0, v10
	v_cmp_le_u32_e32 vcc, s19, v8
	v_cndmask_b32_e64 v10, v14, v12, s[0:1]
	v_cndmask_b32_e64 v12, 0, -1, vcc
	v_cmp_le_u32_e32 vcc, s18, v7
	v_cndmask_b32_e64 v7, 0, -1, vcc
	v_cmp_eq_u32_e32 vcc, s19, v8
	v_cndmask_b32_e32 v7, v12, v7, vcc
	v_cmp_ne_u32_e32 vcc, 0, v7
	v_cndmask_b32_e64 v7, v13, v11, s[0:1]
	v_cndmask_b32_e32 v8, v9, v10, vcc
	v_cndmask_b32_e32 v7, v4, v7, vcc
.LBB0_4:                                ;   in Loop: Header=BB0_2 Depth=1
	s_andn2_saveexec_b64 s[0:1], s[20:21]
	s_cbranch_execz .LBB0_6
; %bb.5:                                ;   in Loop: Header=BB0_2 Depth=1
	v_cvt_f32_u32_e32 v4, s18
	s_sub_i32 s20, 0, s18
	v_rcp_iflag_f32_e32 v4, v4
	v_mul_f32_e32 v4, 0x4f7ffffe, v4
	v_cvt_u32_f32_e32 v4, v4
	v_mul_lo_u32 v7, s20, v4
	v_mul_hi_u32 v7, v4, v7
	v_add_u32_e32 v4, v4, v7
	v_mul_hi_u32 v4, v5, v4
	v_mul_lo_u32 v7, v4, s18
	v_add_u32_e32 v8, 1, v4
	v_sub_u32_e32 v7, v5, v7
	v_subrev_u32_e32 v9, s18, v7
	v_cmp_le_u32_e32 vcc, s18, v7
	v_cndmask_b32_e32 v7, v7, v9, vcc
	v_cndmask_b32_e32 v4, v4, v8, vcc
	v_add_u32_e32 v8, 1, v4
	v_cmp_le_u32_e32 vcc, s18, v7
	v_cndmask_b32_e32 v7, v4, v8, vcc
	v_mov_b32_e32 v8, v3
.LBB0_6:                                ;   in Loop: Header=BB0_2 Depth=1
	s_or_b64 exec, exec, s[0:1]
	v_mul_lo_u32 v4, v8, s18
	v_mul_lo_u32 v11, v7, s19
	v_mad_u64_u32 v[9:10], s[0:1], v7, s18, 0
	s_load_dwordx2 s[0:1], s[6:7], 0x0
	s_add_u32 s16, s16, 1
	v_add3_u32 v4, v10, v11, v4
	v_sub_co_u32_e32 v5, vcc, v5, v9
	v_subb_co_u32_e32 v4, vcc, v6, v4, vcc
	s_waitcnt lgkmcnt(0)
	v_mul_lo_u32 v4, s0, v4
	v_mul_lo_u32 v6, s1, v5
	v_mad_u64_u32 v[1:2], s[0:1], s0, v5, v[1:2]
	s_addc_u32 s17, s17, 0
	s_add_u32 s6, s6, 8
	v_add3_u32 v2, v6, v2, v4
	v_mov_b32_e32 v4, s10
	v_mov_b32_e32 v5, s11
	s_addc_u32 s7, s7, 0
	v_cmp_ge_u64_e32 vcc, s[16:17], v[4:5]
	s_add_u32 s14, s14, 8
	s_addc_u32 s15, s15, 0
	s_cbranch_vccnz .LBB0_9
; %bb.7:                                ;   in Loop: Header=BB0_2 Depth=1
	v_mov_b32_e32 v5, v7
	v_mov_b32_e32 v6, v8
	s_branch .LBB0_2
.LBB0_8:
	v_mov_b32_e32 v8, v6
	v_mov_b32_e32 v7, v5
.LBB0_9:
	s_lshl_b64 s[0:1], s[10:11], 3
	s_add_u32 s0, s12, s0
	s_addc_u32 s1, s13, s1
	s_load_dwordx2 s[6:7], s[0:1], 0x0
	s_load_dwordx2 s[10:11], s[4:5], 0x20
                                        ; implicit-def: $vgpr10
                                        ; implicit-def: $vgpr9
                                        ; implicit-def: $vgpr6
	s_waitcnt lgkmcnt(0)
	v_mad_u64_u32 v[1:2], s[0:1], s6, v7, v[1:2]
	s_mov_b32 s0, 0x25ed098
	v_mul_lo_u32 v3, s6, v8
	v_mul_lo_u32 v4, s7, v7
	v_mul_hi_u32 v5, v0, s0
	v_cmp_gt_u64_e32 vcc, s[10:11], v[7:8]
	v_cmp_le_u64_e64 s[0:1], s[10:11], v[7:8]
	v_add3_u32 v2, v4, v2, v3
	v_mul_u32_u24_e32 v3, 0x6c, v5
	v_sub_u32_e32 v0, v0, v3
                                        ; implicit-def: $vgpr4
                                        ; implicit-def: $vgpr8
	s_and_saveexec_b64 s[4:5], s[0:1]
	s_xor_b64 s[0:1], exec, s[4:5]
; %bb.10:
	v_add_u32_e32 v4, 0x6c, v0
	v_add_u32_e32 v10, 0xd8, v0
	;; [unrolled: 1-line block ×5, first 2 shown]
; %bb.11:
	s_or_saveexec_b64 s[4:5], s[0:1]
	v_lshlrev_b64 v[2:3], 2, v[1:2]
	v_lshl_add_u32 v21, v0, 2, 0
	s_xor_b64 exec, exec, s[4:5]
	s_cbranch_execz .LBB0_13
; %bb.12:
	v_mov_b32_e32 v1, 0
	v_mov_b32_e32 v4, s3
	v_add_co_u32_e64 v6, s[0:1], s2, v2
	v_addc_co_u32_e64 v7, s[0:1], v4, v3, s[0:1]
	v_lshlrev_b64 v[4:5], 2, v[0:1]
	v_add_u32_e32 v10, 0xd8, v0
	v_add_co_u32_e64 v4, s[0:1], v6, v4
	v_addc_co_u32_e64 v5, s[0:1], v7, v5, s[0:1]
	s_movk_i32 s0, 0x1000
	v_add_co_u32_e64 v6, s[0:1], s0, v4
	global_load_dword v1, v[4:5], off
	global_load_dword v11, v[4:5], off offset:432
	global_load_dword v12, v[4:5], off offset:864
	global_load_dword v13, v[4:5], off offset:1296
	global_load_dword v14, v[4:5], off offset:1728
	global_load_dword v15, v[4:5], off offset:2160
	global_load_dword v16, v[4:5], off offset:2592
	global_load_dword v17, v[4:5], off offset:3024
	v_addc_co_u32_e64 v7, s[0:1], 0, v5, s[0:1]
	global_load_dword v18, v[4:5], off offset:3456
	global_load_dword v19, v[4:5], off offset:3888
	;; [unrolled: 1-line block ×8, first 2 shown]
	v_add_u32_e32 v4, 0x6c, v0
	v_add_u32_e32 v9, 0x144, v0
	;; [unrolled: 1-line block ×11, first 2 shown]
	s_waitcnt vmcnt(12)
	ds_write2_b32 v5, v12, v13 offset0:88 offset1:196
	s_waitcnt vmcnt(10)
	ds_write2_b32 v7, v14, v15 offset0:48 offset1:156
	;; [unrolled: 2-line block ×3, first 2 shown]
	ds_write2_b32 v21, v1, v11 offset1:108
	s_waitcnt vmcnt(6)
	ds_write2_b32 v28, v18, v19 offset0:96 offset1:204
	s_waitcnt vmcnt(4)
	ds_write2_b32 v29, v20, v22 offset0:56 offset1:164
	;; [unrolled: 2-line block ×4, first 2 shown]
.LBB0_13:
	s_or_b64 exec, exec, s[4:5]
	v_add_u32_e32 v1, 0x600, v21
	s_waitcnt lgkmcnt(0)
	s_barrier
	ds_read2_b32 v[11:12], v1 offset0:48 offset1:156
	v_add_u32_e32 v1, 0xe00, v21
	ds_read2_b32 v[13:14], v1 offset0:112 offset1:220
	v_add_u32_e32 v1, 0x1800, v21
	ds_read2_b32 v[15:16], v1 offset0:48 offset1:156
	s_movk_i32 s0, 0x3aee
	s_mov_b32 s6, 0xffff
	s_waitcnt lgkmcnt(1)
	v_pk_add_f16 v1, v11, v13
	s_waitcnt lgkmcnt(0)
	v_pk_add_f16 v5, v13, v15
	v_pk_fma_f16 v24, v5, 0.5, v11 op_sel_hi:[1,0,1] neg_lo:[1,0,0] neg_hi:[1,0,0]
	v_pk_add_f16 v11, v14, v16
	v_pk_fma_f16 v28, v11, 0.5, v12 op_sel_hi:[1,0,1] neg_lo:[1,0,0] neg_hi:[1,0,0]
	v_add_u32_e32 v11, 0x200, v21
	v_pk_add_f16 v1, v1, v15
	v_pk_add_f16 v7, v13, v15 neg_lo:[0,1] neg_hi:[0,1]
	ds_read2_b32 v[17:18], v11 offset0:88 offset1:196
	v_add_u32_e32 v11, 0xc00, v21
	v_add_u32_e32 v15, 0x1400, v21
	v_pk_add_f16 v5, v12, v14
	ds_read2_b32 v[12:13], v11 offset0:24 offset1:132
	ds_read2_b32 v[19:20], v15 offset0:88 offset1:196
	v_pk_add_f16 v25, v5, v16
	v_pk_add_f16 v16, v14, v16 neg_lo:[0,1] neg_hi:[0,1]
	v_pk_mul_f16 v16, v16, s0 op_sel_hi:[1,0]
	s_waitcnt lgkmcnt(1)
	v_pk_add_f16 v29, v17, v12
	s_waitcnt lgkmcnt(0)
	v_pk_add_f16 v30, v12, v19
	v_pk_add_f16 v31, v12, v19 neg_lo:[0,1] neg_hi:[0,1]
	v_add_u32_e32 v12, 0x1000, v21
	v_pk_add_f16 v5, v18, v13
	v_pk_add_f16 v33, v13, v20
	v_pk_add_f16 v34, v13, v20 neg_lo:[0,1] neg_hi:[0,1]
	v_add_u32_e32 v13, 0x800, v21
	ds_read2_b32 v[14:15], v21 offset1:108
	ds_read2_b32 v[22:23], v13 offset0:64 offset1:172
	ds_read2_b32 v[26:27], v12 offset0:128 offset1:236
	v_pk_add_f16 v19, v29, v19
	v_pk_add_f16 v20, v5, v20
	s_waitcnt lgkmcnt(0)
	v_pk_add_f16 v29, v14, v22
	v_pk_add_f16 v32, v22, v26
	v_pk_add_f16 v22, v22, v26 neg_lo:[0,1] neg_hi:[0,1]
	v_pk_add_f16 v5, v15, v23
	v_pk_fma_f16 v14, v32, 0.5, v14 op_sel_hi:[1,0,1] neg_lo:[1,0,0] neg_hi:[1,0,0]
	v_pk_mul_f16 v22, v22, s0 op_sel_hi:[1,0]
	v_pk_add_f16 v35, v23, v27
	v_pk_add_f16 v23, v23, v27 neg_lo:[0,1] neg_hi:[0,1]
	v_pk_add_f16 v27, v5, v27
	v_pk_add_f16 v5, v29, v26
	v_pk_add_f16 v26, v14, v22 op_sel:[0,1] op_sel_hi:[1,0]
	v_pk_add_f16 v14, v14, v22 op_sel:[0,1] op_sel_hi:[1,0] neg_lo:[0,1] neg_hi:[0,1]
	v_lshl_add_u32 v22, v0, 3, v21
	v_bfi_b32 v29, s6, v26, v14
	s_barrier
	ds_write2_b32 v22, v5, v29 offset1:1
	v_bfi_b32 v5, s6, v14, v26
	ds_write_b32 v22, v5 offset:8
	v_pk_fma_f16 v5, v35, 0.5, v15 op_sel_hi:[1,0,1] neg_lo:[1,0,0] neg_hi:[1,0,0]
	v_pk_mul_f16 v14, v23, s0 op_sel_hi:[1,0]
	v_pk_add_f16 v15, v5, v14 op_sel:[0,1] op_sel_hi:[1,0]
	v_pk_add_f16 v14, v5, v14 op_sel:[0,1] op_sel_hi:[1,0] neg_lo:[0,1] neg_hi:[0,1]
	v_mad_i32_i24 v5, v4, 12, 0
	v_bfi_b32 v22, s6, v15, v14
	v_bfi_b32 v14, s6, v14, v15
	ds_write_b32 v5, v14 offset:8
	v_pk_fma_f16 v14, v30, 0.5, v17 op_sel_hi:[1,0,1] neg_lo:[1,0,0] neg_hi:[1,0,0]
	v_pk_mul_f16 v15, v31, s0 op_sel_hi:[1,0]
	v_pk_add_f16 v17, v14, v15 op_sel:[0,1] op_sel_hi:[1,0]
	v_pk_add_f16 v14, v14, v15 op_sel:[0,1] op_sel_hi:[1,0] neg_lo:[0,1] neg_hi:[0,1]
	v_mad_i32_i24 v32, v10, 12, 0
	v_bfi_b32 v15, s6, v17, v14
	v_bfi_b32 v14, s6, v14, v17
	ds_write2_b32 v5, v27, v22 offset1:1
	ds_write2_b32 v32, v19, v15 offset1:1
	v_pk_fma_f16 v15, v33, 0.5, v18 op_sel_hi:[1,0,1] neg_lo:[1,0,0] neg_hi:[1,0,0]
	ds_write_b32 v32, v14 offset:8
	v_pk_mul_f16 v14, v34, s0 op_sel_hi:[1,0]
	v_pk_mul_f16 v18, v7, s0 op_sel_hi:[1,0]
	v_pk_add_f16 v17, v15, v14 op_sel:[0,1] op_sel_hi:[1,0]
	v_pk_add_f16 v14, v15, v14 op_sel:[0,1] op_sel_hi:[1,0] neg_lo:[0,1] neg_hi:[0,1]
	v_pk_add_f16 v7, v28, v16 op_sel:[0,1] op_sel_hi:[1,0] neg_lo:[0,1] neg_hi:[0,1]
	v_pk_add_f16 v23, v16, v28 op_sel:[1,0] op_sel_hi:[0,1]
	v_pk_add_f16 v27, v24, v18 op_sel:[0,1] op_sel_hi:[1,0]
	v_mad_i32_i24 v16, v9, 12, 0
	v_bfi_b32 v15, s6, v17, v14
	v_bfi_b32 v14, s6, v14, v17
	v_pk_add_f16 v28, v24, v18 op_sel:[0,1] op_sel_hi:[1,0] neg_lo:[0,1] neg_hi:[0,1]
	ds_write2_b32 v16, v20, v15 offset1:1
	ds_write_b32 v16, v14 offset:8
	v_mad_i32_i24 v14, v6, 12, 0
	v_bfi_b32 v15, s6, v28, v27
	v_bfi_b32 v16, s6, v27, v28
	v_cmp_gt_u32_e64 s[0:1], 36, v0
	ds_write_b32 v14, v1
	ds_write2_b32 v14, v16, v15 offset0:1 offset1:2
	s_and_saveexec_b64 s[4:5], s[0:1]
	s_cbranch_execz .LBB0_15
; %bb.14:
	v_mad_i32_i24 v14, v8, 12, 0
	v_bfi_b32 v15, s6, v7, v23
	v_bfi_b32 v16, s6, v23, v7
	ds_write_b32 v14, v25
	ds_write2_b32 v14, v16, v15 offset0:1 offset1:2
.LBB0_15:
	s_or_b64 exec, exec, s[4:5]
	v_add_u32_e32 v14, 0x400, v21
	s_waitcnt lgkmcnt(0)
	s_barrier
	ds_read2_b32 v[19:20], v14 offset0:32 offset1:140
	ds_read2_b32 v[17:18], v13 offset0:64 offset1:172
	ds_read2_b32 v[15:16], v11 offset0:96 offset1:204
	ds_read2_b32 v[13:14], v12 offset0:128 offset1:236
	v_lshlrev_b32_e32 v22, 3, v4
	v_add_u32_e32 v11, 0x1600, v21
	v_sub_u32_e32 v24, v5, v22
	ds_read2_b32 v[11:12], v11 offset0:32 offset1:140
	ds_read_b32 v26, v21
	ds_read_b32 v24, v24
	s_movk_i32 s0, 0x48
	v_lshrrev_b32_e32 v30, 16, v27
	v_cmp_gt_u32_e64 s[0:1], s0, v0
	v_lshrrev_b32_e32 v29, 16, v7
	v_lshrrev_b32_e32 v31, 16, v28
	s_and_saveexec_b64 s[4:5], s[0:1]
	s_cbranch_execz .LBB0_17
; %bb.16:
	v_lshlrev_b32_e32 v1, 3, v10
	v_sub_u32_e32 v1, v32, v1
	ds_read_b32 v1, v1
	ds_read_b32 v27, v21 offset:2016
	ds_read_b32 v28, v21 offset:3168
	;; [unrolled: 1-line block ×5, first 2 shown]
	s_waitcnt lgkmcnt(4)
	v_lshrrev_b32_e32 v31, 16, v27
	s_waitcnt lgkmcnt(3)
	v_lshrrev_b32_e32 v30, 16, v28
	;; [unrolled: 2-line block ×3, first 2 shown]
	s_waitcnt lgkmcnt(0)
	v_bfi_b32 v23, s6, v23, v7
.LBB0_17:
	s_or_b64 exec, exec, s[4:5]
	s_movk_i32 s4, 0xab
	v_mul_lo_u16_sdwa v32, v0, s4 dst_sel:DWORD dst_unused:UNUSED_PAD src0_sel:BYTE_0 src1_sel:DWORD
	v_lshrrev_b16_e32 v36, 9, v32
	v_mul_lo_u16_e32 v32, 3, v36
	v_sub_u16_e32 v37, v0, v32
	v_mov_b32_e32 v38, 5
	v_mul_u32_u24_sdwa v32, v37, v38 dst_sel:DWORD dst_unused:UNUSED_PAD src0_sel:BYTE_0 src1_sel:DWORD
	v_lshlrev_b32_e32 v39, 2, v32
	global_load_dwordx4 v[32:35], v39, s[8:9]
	global_load_dword v40, v39, s[8:9] offset:16
	s_waitcnt lgkmcnt(3)
	v_lshrrev_b32_e32 v46, 16, v13
	v_lshrrev_b32_e32 v44, 16, v15
	;; [unrolled: 1-line block ×6, first 2 shown]
	s_movk_i32 s5, 0x3aee
	v_mul_u32_u24_e32 v36, 0x48, v36
	v_sub_u32_e32 v22, 0, v22
	s_waitcnt vmcnt(1)
	v_mul_f16_sdwa v47, v35, v13 dst_sel:DWORD dst_unused:UNUSED_PAD src0_sel:WORD_1 src1_sel:DWORD
	v_fma_f16 v47, v35, v46, v47
	v_mul_f16_sdwa v46, v35, v46 dst_sel:DWORD dst_unused:UNUSED_PAD src0_sel:WORD_1 src1_sel:DWORD
	v_mul_f16_sdwa v45, v34, v15 dst_sel:DWORD dst_unused:UNUSED_PAD src0_sel:WORD_1 src1_sel:DWORD
	v_fma_f16 v46, v35, v13, -v46
	v_mul_lo_u16_sdwa v13, v4, s4 dst_sel:DWORD dst_unused:UNUSED_PAD src0_sel:BYTE_0 src1_sel:DWORD
	v_fma_f16 v45, v34, v44, v45
	v_mul_f16_sdwa v44, v34, v44 dst_sel:DWORD dst_unused:UNUSED_PAD src0_sel:WORD_1 src1_sel:DWORD
	v_lshrrev_b16_e32 v13, 9, v13
	v_mul_f16_sdwa v43, v33, v17 dst_sel:DWORD dst_unused:UNUSED_PAD src0_sel:WORD_1 src1_sel:DWORD
	v_fma_f16 v44, v34, v15, -v44
	v_mul_lo_u16_e32 v15, 3, v13
	v_fma_f16 v43, v33, v42, v43
	v_mul_f16_sdwa v42, v33, v42 dst_sel:DWORD dst_unused:UNUSED_PAD src0_sel:WORD_1 src1_sel:DWORD
	v_sub_u16_e32 v15, v4, v15
	v_mul_f16_sdwa v41, v32, v19 dst_sel:DWORD dst_unused:UNUSED_PAD src0_sel:WORD_1 src1_sel:DWORD
	v_fma_f16 v42, v33, v17, -v42
	v_mul_u32_u24_sdwa v17, v15, v38 dst_sel:DWORD dst_unused:UNUSED_PAD src0_sel:BYTE_0 src1_sel:DWORD
	v_fma_f16 v41, v32, v39, v41
	v_mul_f16_sdwa v39, v32, v39 dst_sel:DWORD dst_unused:UNUSED_PAD src0_sel:WORD_1 src1_sel:DWORD
	v_lshlrev_b32_e32 v17, 2, v17
	v_fma_f16 v39, v32, v19, -v39
	global_load_dword v38, v17, s[8:9] offset:16
	global_load_dwordx4 v[32:35], v17, s[8:9]
	s_mov_b32 s4, 0xaaab
	v_lshrrev_b32_e32 v19, 16, v20
	v_mul_u32_u24_e32 v13, 0x48, v13
	s_waitcnt vmcnt(0)
	v_mul_f16_sdwa v53, v52, v35 dst_sel:DWORD dst_unused:UNUSED_PAD src0_sel:DWORD src1_sel:WORD_1
	v_fma_f16 v53, v14, v35, -v53
	v_mul_f16_sdwa v14, v14, v35 dst_sel:DWORD dst_unused:UNUSED_PAD src0_sel:DWORD src1_sel:WORD_1
	v_mul_f16_sdwa v51, v34, v50 dst_sel:DWORD dst_unused:UNUSED_PAD src0_sel:WORD_1 src1_sel:DWORD
	v_fma_f16 v35, v52, v35, v14
	v_mul_u32_u24_sdwa v14, v10, s4 dst_sel:DWORD dst_unused:UNUSED_PAD src0_sel:WORD_0 src1_sel:DWORD
	v_fma_f16 v51, v34, v16, -v51
	v_mul_f16_sdwa v16, v34, v16 dst_sel:DWORD dst_unused:UNUSED_PAD src0_sel:WORD_1 src1_sel:DWORD
	v_lshrrev_b32_e32 v14, 17, v14
	v_mul_f16_sdwa v17, v32, v19 dst_sel:DWORD dst_unused:UNUSED_PAD src0_sel:WORD_1 src1_sel:DWORD
	v_fma_f16 v34, v34, v50, v16
	v_mul_lo_u16_e32 v16, 3, v14
	v_fma_f16 v48, v32, v20, -v17
	v_mul_f16_sdwa v17, v32, v20 dst_sel:DWORD dst_unused:UNUSED_PAD src0_sel:WORD_1 src1_sel:DWORD
	v_lshrrev_b32_e32 v20, 16, v18
	v_sub_u16_e32 v16, v10, v16
	v_mul_f16_sdwa v49, v33, v20 dst_sel:DWORD dst_unused:UNUSED_PAD src0_sel:WORD_1 src1_sel:DWORD
	v_fma_f16 v32, v32, v19, v17
	v_mul_u32_u24_e32 v17, 5, v16
	v_fma_f16 v49, v33, v18, -v49
	v_mul_f16_sdwa v18, v33, v18 dst_sel:DWORD dst_unused:UNUSED_PAD src0_sel:WORD_1 src1_sel:DWORD
	v_lshlrev_b32_e32 v50, 2, v17
	v_fma_f16 v33, v33, v20, v18
	global_load_dword v52, v50, s[8:9] offset:16
	global_load_dwordx4 v[17:20], v50, s[8:9]
	s_mov_b32 s4, 0xbaee
	s_waitcnt vmcnt(0) lgkmcnt(0)
	s_barrier
	v_mul_f16_sdwa v50, v31, v17 dst_sel:DWORD dst_unused:UNUSED_PAD src0_sel:DWORD src1_sel:WORD_1
	v_fma_f16 v50, v27, v17, -v50
	v_mul_f16_sdwa v27, v27, v17 dst_sel:DWORD dst_unused:UNUSED_PAD src0_sel:DWORD src1_sel:WORD_1
	v_fma_f16 v17, v31, v17, v27
	v_mul_f16_sdwa v27, v30, v18 dst_sel:DWORD dst_unused:UNUSED_PAD src0_sel:DWORD src1_sel:WORD_1
	v_fma_f16 v27, v28, v18, -v27
	v_mul_f16_sdwa v28, v28, v18 dst_sel:DWORD dst_unused:UNUSED_PAD src0_sel:DWORD src1_sel:WORD_1
	v_fma_f16 v18, v30, v18, v28
	v_lshrrev_b32_e32 v28, 16, v25
	v_mul_f16_sdwa v30, v28, v19 dst_sel:DWORD dst_unused:UNUSED_PAD src0_sel:DWORD src1_sel:WORD_1
	v_fma_f16 v30, v25, v19, -v30
	v_mul_f16_sdwa v25, v25, v19 dst_sel:DWORD dst_unused:UNUSED_PAD src0_sel:DWORD src1_sel:WORD_1
	v_fma_f16 v19, v28, v19, v25
	v_mul_f16_sdwa v25, v23, v20 dst_sel:DWORD dst_unused:UNUSED_PAD src0_sel:DWORD src1_sel:WORD_1
	v_mul_f16_sdwa v28, v29, v20 dst_sel:DWORD dst_unused:UNUSED_PAD src0_sel:DWORD src1_sel:WORD_1
	v_fma_f16 v25, v29, v20, v25
	v_fma_f16 v20, v23, v20, -v28
	v_lshrrev_b32_e32 v28, 16, v11
	v_mul_f16_sdwa v29, v40, v11 dst_sel:DWORD dst_unused:UNUSED_PAD src0_sel:WORD_1 src1_sel:DWORD
	v_fma_f16 v29, v40, v28, v29
	v_mul_f16_sdwa v28, v40, v28 dst_sel:DWORD dst_unused:UNUSED_PAD src0_sel:WORD_1 src1_sel:DWORD
	v_fma_f16 v11, v40, v11, -v28
	v_lshrrev_b32_e32 v28, 16, v26
	v_add_f16_e32 v31, v28, v43
	v_sub_f16_e32 v40, v43, v47
	v_add_f16_e32 v43, v43, v47
	v_fma_f16 v28, v43, -0.5, v28
	v_add_f16_e32 v43, v42, v46
	v_fma_f16 v43, v43, -0.5, v26
	v_add_f16_e32 v26, v26, v42
	v_add_f16_e32 v26, v26, v46
	v_sub_f16_e32 v42, v42, v46
	v_add_f16_e32 v46, v41, v45
	v_add_f16_e32 v31, v31, v47
	;; [unrolled: 1-line block ×3, first 2 shown]
	v_sub_f16_e32 v47, v45, v29
	v_add_f16_e32 v29, v45, v29
	v_fma_f16 v29, v29, -0.5, v41
	v_add_f16_e32 v41, v44, v11
	v_fma_f16 v41, v41, -0.5, v39
	v_add_f16_e32 v39, v39, v44
	v_add_f16_e32 v39, v39, v11
	v_sub_f16_e32 v11, v44, v11
	v_fma_f16 v45, v11, s4, v29
	v_fma_f16 v44, v47, s5, v41
	v_mul_f16_e32 v54, 0x3aee, v45
	v_fma_f16 v54, v44, 0.5, v54
	v_mul_f16_e32 v44, 0xbaee, v44
	v_fma_f16 v44, v45, 0.5, v44
	v_mov_b32_e32 v45, 2
	v_lshlrev_b32_sdwa v37, v45, v37 dst_sel:DWORD dst_unused:UNUSED_PAD src0_sel:DWORD src1_sel:BYTE_0
	v_add3_u32 v36, 0, v36, v37
	v_add_f16_e32 v37, v26, v39
	v_add_f16_e32 v55, v31, v46
	v_pack_b32_f16 v37, v37, v55
	v_fma_f16 v55, v40, s5, v43
	v_fma_f16 v56, v42, s4, v28
	v_add_f16_e32 v57, v55, v54
	v_add_f16_e32 v58, v56, v44
	v_pack_b32_f16 v57, v57, v58
	ds_write2_b32 v36, v37, v57 offset1:3
	v_fma_f16 v37, v40, s4, v43
	v_fma_f16 v40, v47, s4, v41
	;; [unrolled: 1-line block ×3, first 2 shown]
	v_mul_f16_e32 v29, -0.5, v40
	v_fma_f16 v29, v11, s5, v29
	v_mul_f16_e32 v11, -0.5, v11
	v_fma_f16 v28, v42, s5, v28
	v_fma_f16 v11, v40, s4, v11
	v_sub_f16_e32 v26, v26, v39
	v_sub_f16_e32 v31, v31, v46
	v_add_f16_e32 v39, v37, v29
	v_add_f16_e32 v40, v28, v11
	v_pack_b32_f16 v39, v39, v40
	v_pack_b32_f16 v26, v26, v31
	ds_write2_b32 v36, v39, v26 offset0:6 offset1:9
	v_sub_f16_e32 v26, v55, v54
	v_sub_f16_e32 v29, v37, v29
	;; [unrolled: 1-line block ×4, first 2 shown]
	v_pack_b32_f16 v26, v26, v31
	v_pack_b32_f16 v11, v29, v11
	ds_write2_b32 v36, v26, v11 offset0:12 offset1:15
	v_lshrrev_b32_e32 v11, 16, v12
	v_mul_f16_sdwa v26, v11, v38 dst_sel:DWORD dst_unused:UNUSED_PAD src0_sel:DWORD src1_sel:WORD_1
	v_fma_f16 v26, v12, v38, -v26
	v_mul_f16_sdwa v12, v12, v38 dst_sel:DWORD dst_unused:UNUSED_PAD src0_sel:DWORD src1_sel:WORD_1
	v_fma_f16 v11, v11, v38, v12
	v_lshrrev_b32_e32 v12, 16, v23
	v_mul_f16_sdwa v23, v12, v52 dst_sel:DWORD dst_unused:UNUSED_PAD src0_sel:DWORD src1_sel:WORD_1
	v_fma_f16 v23, v7, v52, -v23
	v_mul_f16_sdwa v7, v7, v52 dst_sel:DWORD dst_unused:UNUSED_PAD src0_sel:DWORD src1_sel:WORD_1
	v_fma_f16 v7, v12, v52, v7
	v_add_f16_e32 v12, v49, v53
	v_fma_f16 v12, v12, -0.5, v24
	v_sub_f16_e32 v28, v33, v35
	v_fma_f16 v29, v28, s5, v12
	v_fma_f16 v12, v28, s4, v12
	v_lshrrev_b32_e32 v28, 16, v24
	v_add_f16_e32 v31, v28, v33
	v_add_f16_e32 v33, v33, v35
	v_fma_f16 v28, v33, -0.5, v28
	v_sub_f16_e32 v33, v49, v53
	v_add_f16_e32 v31, v31, v35
	v_fma_f16 v35, v33, s4, v28
	v_fma_f16 v28, v33, s5, v28
	v_add_f16_e32 v33, v51, v26
	v_fma_f16 v33, v33, -0.5, v48
	v_sub_f16_e32 v36, v34, v11
	v_fma_f16 v37, v36, s5, v33
	v_fma_f16 v33, v36, s4, v33
	v_add_f16_e32 v36, v32, v34
	v_add_f16_e32 v36, v36, v11
	;; [unrolled: 1-line block ×3, first 2 shown]
	v_fma_f16 v11, v11, -0.5, v32
	v_add_f16_e32 v32, v48, v51
	v_add_f16_e32 v32, v32, v26
	v_sub_f16_e32 v26, v51, v26
	v_fma_f16 v34, v26, s4, v11
	v_fma_f16 v11, v26, s5, v11
	v_mul_f16_e32 v26, 0x3aee, v34
	v_add_f16_e32 v24, v24, v49
	v_fma_f16 v26, v37, 0.5, v26
	v_mul_f16_e32 v37, 0xbaee, v37
	v_add_f16_e32 v24, v24, v53
	v_fma_f16 v34, v34, 0.5, v37
	v_mul_f16_e32 v37, -0.5, v33
	v_fma_f16 v37, v11, s5, v37
	v_mul_f16_e32 v11, -0.5, v11
	v_add_f16_e32 v38, v24, v32
	v_sub_f16_e32 v39, v24, v32
	v_add_f16_e32 v24, v27, v20
	v_fma_f16 v11, v33, s4, v11
	v_add_f16_e32 v40, v29, v26
	v_sub_f16_e32 v41, v29, v26
	v_fma_f16 v24, v24, -0.5, v1
	v_sub_f16_e32 v26, v18, v25
	v_add_f16_e32 v43, v35, v34
	v_sub_f16_e32 v34, v35, v34
	v_add_f16_e32 v35, v28, v11
	v_sub_f16_e32 v11, v28, v11
	v_fma_f16 v28, v26, s5, v24
	v_fma_f16 v24, v26, s4, v24
	v_lshrrev_b32_e32 v26, 16, v1
	v_add_f16_e32 v29, v26, v18
	v_add_f16_e32 v18, v18, v25
	;; [unrolled: 1-line block ×4, first 2 shown]
	v_fma_f16 v18, v18, -0.5, v26
	v_add_f16_e32 v25, v1, v20
	v_sub_f16_e32 v1, v27, v20
	v_fma_f16 v20, v1, s4, v18
	v_fma_f16 v18, v1, s5, v18
	v_add_f16_e32 v1, v30, v23
	v_fma_f16 v1, v1, -0.5, v50
	v_sub_f16_e32 v26, v19, v7
	v_fma_f16 v27, v26, s5, v1
	v_fma_f16 v1, v26, s4, v1
	v_add_f16_e32 v26, v17, v19
	v_add_f16_e32 v42, v12, v37
	v_sub_f16_e32 v12, v12, v37
	v_add_f16_e32 v37, v31, v36
	v_sub_f16_e32 v36, v31, v36
	v_add_f16_e32 v31, v26, v7
	v_add_f16_e32 v7, v19, v7
	v_fma_f16 v7, v7, -0.5, v17
	v_add_f16_e32 v17, v50, v30
	v_sub_f16_e32 v19, v30, v23
	v_add_f16_e32 v17, v17, v23
	v_fma_f16 v23, v19, s4, v7
	v_mul_f16_e32 v26, 0xbaee, v27
	v_fma_f16 v7, v19, s5, v7
	v_mul_f16_e32 v19, 0x3aee, v23
	v_fma_f16 v23, v23, 0.5, v26
	v_mul_f16_e32 v26, -0.5, v1
	v_fma_f16 v30, v7, s5, v26
	v_mul_f16_e32 v7, -0.5, v7
	v_lshlrev_b32_sdwa v15, v45, v15 dst_sel:DWORD dst_unused:UNUSED_PAD src0_sel:DWORD src1_sel:BYTE_0
	v_fma_f16 v44, v1, s4, v7
	v_add_f16_e32 v1, v25, v17
	v_sub_f16_e32 v25, v25, v17
	v_add3_u32 v13, 0, v13, v15
	v_pack_b32_f16 v15, v38, v37
	v_pack_b32_f16 v17, v40, v43
	v_fma_f16 v19, v27, 0.5, v19
	ds_write2_b32 v13, v15, v17 offset1:3
	v_pack_b32_f16 v15, v42, v35
	v_pack_b32_f16 v17, v39, v36
	v_add_f16_e32 v7, v28, v19
	v_sub_f16_e32 v27, v28, v19
	v_add_f16_e32 v26, v24, v30
	v_sub_f16_e32 v28, v24, v30
	;; [unrolled: 2-line block ×5, first 2 shown]
	ds_write2_b32 v13, v15, v17 offset0:6 offset1:9
	v_pack_b32_f16 v15, v41, v34
	v_pack_b32_f16 v11, v12, v11
	ds_write2_b32 v13, v15, v11 offset0:12 offset1:15
	s_and_saveexec_b64 s[4:5], s[0:1]
	s_cbranch_execz .LBB0_19
; %bb.18:
	v_mul_lo_u16_e32 v11, 18, v14
	v_lshlrev_b32_e32 v12, 2, v16
	v_lshlrev_b32_e32 v11, 2, v11
	s_mov_b32 s6, 0x5040100
	v_add3_u32 v11, 0, v12, v11
	v_perm_b32 v12, v24, v1, s6
	v_perm_b32 v13, v29, v7, s6
	ds_write2_b32 v11, v12, v13 offset1:3
	v_perm_b32 v12, v32, v26, s6
	v_perm_b32 v13, v30, v25, s6
	ds_write2_b32 v11, v12, v13 offset0:6 offset1:9
	v_perm_b32 v12, v33, v27, s6
	v_perm_b32 v13, v31, v28, s6
	ds_write2_b32 v11, v12, v13 offset0:12 offset1:15
.LBB0_19:
	s_or_b64 exec, exec, s[4:5]
	v_add_u32_e32 v11, 0x400, v21
	s_waitcnt lgkmcnt(0)
	s_barrier
	ds_read2_b32 v[13:14], v11 offset0:32 offset1:140
	v_add_u32_e32 v11, 0x800, v21
	ds_read2_b32 v[15:16], v11 offset0:64 offset1:172
	v_add_u32_e32 v11, 0xc00, v21
	;; [unrolled: 2-line block ×5, first 2 shown]
	ds_read_b32 v34, v21
	ds_read_b32 v5, v23
	v_lshl_add_u32 v22, v10, 2, 0
	s_and_saveexec_b64 s[4:5], s[0:1]
	s_cbranch_execz .LBB0_21
; %bb.20:
	ds_read_b32 v1, v22
	ds_read_b32 v7, v21 offset:2016
	ds_read_b32 v26, v21 offset:3168
	;; [unrolled: 1-line block ×5, first 2 shown]
	s_waitcnt lgkmcnt(5)
	v_lshrrev_b32_e32 v24, 16, v1
	s_waitcnt lgkmcnt(4)
	v_lshrrev_b32_e32 v29, 16, v7
	;; [unrolled: 2-line block ×6, first 2 shown]
.LBB0_21:
	s_or_b64 exec, exec, s[4:5]
	v_mov_b32_e32 v51, 57
	v_mul_lo_u16_sdwa v35, v0, v51 dst_sel:DWORD dst_unused:UNUSED_PAD src0_sel:BYTE_0 src1_sel:DWORD
	v_lshrrev_b16_e32 v52, 10, v35
	v_mul_lo_u16_e32 v35, 18, v52
	v_sub_u16_e32 v53, v0, v35
	v_mov_b32_e32 v54, 5
	v_mul_u32_u24_sdwa v35, v53, v54 dst_sel:DWORD dst_unused:UNUSED_PAD src0_sel:BYTE_0 src1_sel:DWORD
	v_lshlrev_b32_e32 v55, 2, v35
	global_load_dwordx4 v[35:38], v55, s[8:9] offset:60
	s_waitcnt lgkmcnt(6)
	v_lshrrev_b32_e32 v43, 16, v13
	s_waitcnt lgkmcnt(5)
	v_lshrrev_b32_e32 v44, 16, v15
	;; [unrolled: 2-line block ×5, first 2 shown]
	v_lshrrev_b32_e32 v48, 16, v14
	v_lshrrev_b32_e32 v49, 16, v16
	;; [unrolled: 1-line block ×5, first 2 shown]
	s_waitcnt lgkmcnt(1)
	v_lshrrev_b32_e32 v39, 16, v34
	s_movk_i32 s6, 0x3aee
	s_mov_b32 s7, 0xbaee
	s_waitcnt lgkmcnt(0)
	v_lshrrev_b32_e32 v40, 16, v5
	s_waitcnt vmcnt(0)
	v_mul_f16_sdwa v56, v35, v43 dst_sel:DWORD dst_unused:UNUSED_PAD src0_sel:WORD_1 src1_sel:DWORD
	v_fma_f16 v56, v35, v13, -v56
	v_mul_f16_sdwa v13, v35, v13 dst_sel:DWORD dst_unused:UNUSED_PAD src0_sel:WORD_1 src1_sel:DWORD
	v_fma_f16 v13, v35, v43, v13
	v_mul_f16_sdwa v35, v36, v44 dst_sel:DWORD dst_unused:UNUSED_PAD src0_sel:WORD_1 src1_sel:DWORD
	v_fma_f16 v43, v36, v15, -v35
	v_mul_f16_sdwa v15, v36, v15 dst_sel:DWORD dst_unused:UNUSED_PAD src0_sel:WORD_1 src1_sel:DWORD
	v_mul_f16_sdwa v35, v37, v45 dst_sel:DWORD dst_unused:UNUSED_PAD src0_sel:WORD_1 src1_sel:DWORD
	v_fma_f16 v15, v36, v44, v15
	v_fma_f16 v44, v37, v17, -v35
	v_mul_f16_sdwa v17, v37, v17 dst_sel:DWORD dst_unused:UNUSED_PAD src0_sel:WORD_1 src1_sel:DWORD
	v_mul_f16_sdwa v35, v38, v46 dst_sel:DWORD dst_unused:UNUSED_PAD src0_sel:WORD_1 src1_sel:DWORD
	v_fma_f16 v17, v37, v45, v17
	v_fma_f16 v45, v38, v19, -v35
	global_load_dword v35, v55, s[8:9] offset:76
	v_mul_f16_sdwa v19, v38, v19 dst_sel:DWORD dst_unused:UNUSED_PAD src0_sel:WORD_1 src1_sel:DWORD
	v_fma_f16 v19, v38, v46, v19
	s_waitcnt vmcnt(0)
	v_mul_f16_sdwa v36, v35, v47 dst_sel:DWORD dst_unused:UNUSED_PAD src0_sel:WORD_1 src1_sel:DWORD
	v_fma_f16 v46, v35, v11, -v36
	v_mul_f16_sdwa v11, v35, v11 dst_sel:DWORD dst_unused:UNUSED_PAD src0_sel:WORD_1 src1_sel:DWORD
	v_fma_f16 v11, v35, v47, v11
	v_mul_lo_u16_sdwa v35, v4, v51 dst_sel:DWORD dst_unused:UNUSED_PAD src0_sel:BYTE_0 src1_sel:DWORD
	v_lshrrev_b16_e32 v47, 10, v35
	v_mul_lo_u16_e32 v35, 18, v47
	v_sub_u16_e32 v51, v4, v35
	v_mul_u32_u24_sdwa v35, v51, v54 dst_sel:DWORD dst_unused:UNUSED_PAD src0_sel:BYTE_0 src1_sel:DWORD
	v_lshlrev_b32_e32 v54, 2, v35
	global_load_dwordx4 v[35:38], v54, s[8:9] offset:60
	s_waitcnt vmcnt(0)
	v_mul_f16_sdwa v55, v35, v48 dst_sel:DWORD dst_unused:UNUSED_PAD src0_sel:WORD_1 src1_sel:DWORD
	v_fma_f16 v55, v35, v14, -v55
	v_mul_f16_sdwa v14, v35, v14 dst_sel:DWORD dst_unused:UNUSED_PAD src0_sel:WORD_1 src1_sel:DWORD
	v_fma_f16 v14, v35, v48, v14
	v_mul_f16_sdwa v35, v36, v49 dst_sel:DWORD dst_unused:UNUSED_PAD src0_sel:WORD_1 src1_sel:DWORD
	v_fma_f16 v35, v36, v16, -v35
	v_mul_f16_sdwa v16, v36, v16 dst_sel:DWORD dst_unused:UNUSED_PAD src0_sel:WORD_1 src1_sel:DWORD
	v_fma_f16 v16, v36, v49, v16
	v_mul_f16_sdwa v36, v37, v50 dst_sel:DWORD dst_unused:UNUSED_PAD src0_sel:WORD_1 src1_sel:DWORD
	v_fma_f16 v36, v37, v18, -v36
	v_mul_f16_sdwa v18, v37, v18 dst_sel:DWORD dst_unused:UNUSED_PAD src0_sel:WORD_1 src1_sel:DWORD
	v_fma_f16 v18, v37, v50, v18
	v_mul_f16_sdwa v37, v41, v38 dst_sel:DWORD dst_unused:UNUSED_PAD src0_sel:DWORD src1_sel:WORD_1
	v_fma_f16 v37, v20, v38, -v37
	v_mul_f16_sdwa v20, v20, v38 dst_sel:DWORD dst_unused:UNUSED_PAD src0_sel:DWORD src1_sel:WORD_1
	v_fma_f16 v20, v41, v38, v20
	global_load_dword v38, v54, s[8:9] offset:76
	s_waitcnt vmcnt(0)
	s_barrier
	v_mul_f16_sdwa v41, v42, v38 dst_sel:DWORD dst_unused:UNUSED_PAD src0_sel:DWORD src1_sel:WORD_1
	v_fma_f16 v41, v12, v38, -v41
	v_mul_f16_sdwa v12, v12, v38 dst_sel:DWORD dst_unused:UNUSED_PAD src0_sel:DWORD src1_sel:WORD_1
	v_fma_f16 v12, v42, v38, v12
	v_add_f16_e32 v42, v43, v45
	v_add_f16_e32 v38, v34, v43
	v_fma_f16 v34, v42, -0.5, v34
	v_sub_f16_e32 v42, v15, v19
	v_fma_f16 v48, v42, s6, v34
	v_fma_f16 v34, v42, s7, v34
	v_add_f16_e32 v42, v39, v15
	v_add_f16_e32 v42, v42, v19
	;; [unrolled: 1-line block ×3, first 2 shown]
	v_sub_f16_e32 v19, v43, v45
	v_add_f16_e32 v43, v44, v46
	v_add_f16_e32 v38, v38, v45
	v_fma_f16 v43, v43, -0.5, v56
	v_sub_f16_e32 v45, v17, v11
	v_fma_f16 v49, v45, s6, v43
	v_fma_f16 v43, v45, s7, v43
	v_add_f16_e32 v45, v13, v17
	v_add_f16_e32 v45, v45, v11
	;; [unrolled: 1-line block ×3, first 2 shown]
	v_fma_f16 v11, v11, -0.5, v13
	v_sub_f16_e32 v13, v44, v46
	v_fma_f16 v15, v15, -0.5, v39
	v_fma_f16 v17, v13, s7, v11
	v_fma_f16 v39, v19, s7, v15
	;; [unrolled: 1-line block ×3, first 2 shown]
	v_add_f16_e32 v19, v56, v44
	v_mul_f16_e32 v44, 0x3aee, v17
	v_fma_f16 v11, v13, s6, v11
	v_fma_f16 v44, v49, 0.5, v44
	v_mul_f16_e32 v50, -0.5, v43
	v_mul_f16_e32 v49, 0xbaee, v49
	v_fma_f16 v50, v11, s6, v50
	v_fma_f16 v17, v17, 0.5, v49
	v_mul_f16_e32 v11, -0.5, v11
	v_add_f16_e32 v49, v39, v17
	v_fma_f16 v11, v43, s7, v11
	v_sub_f16_e32 v17, v39, v17
	v_add_f16_e32 v39, v35, v37
	v_add_f16_e32 v19, v19, v46
	;; [unrolled: 1-line block ×3, first 2 shown]
	v_sub_f16_e32 v11, v15, v11
	v_add_f16_e32 v15, v5, v35
	v_fma_f16 v5, v39, -0.5, v5
	v_sub_f16_e32 v39, v16, v20
	v_add_f16_e32 v13, v38, v19
	v_add_f16_e32 v46, v48, v44
	v_sub_f16_e32 v19, v38, v19
	v_sub_f16_e32 v38, v48, v44
	v_fma_f16 v44, v39, s6, v5
	v_fma_f16 v5, v39, s7, v5
	v_add_f16_e32 v39, v40, v16
	v_add_f16_e32 v15, v15, v37
	;; [unrolled: 1-line block ×4, first 2 shown]
	v_sub_f16_e32 v20, v35, v37
	v_add_f16_e32 v37, v36, v41
	v_fma_f16 v16, v16, -0.5, v40
	v_fma_f16 v37, v37, -0.5, v55
	v_sub_f16_e32 v40, v18, v12
	v_add_f16_e32 v56, v42, v45
	v_sub_f16_e32 v42, v42, v45
	v_fma_f16 v45, v40, s6, v37
	v_fma_f16 v37, v40, s7, v37
	v_add_f16_e32 v40, v14, v18
	v_add_f16_e32 v40, v40, v12
	;; [unrolled: 1-line block ×3, first 2 shown]
	v_fma_f16 v12, v12, -0.5, v14
	v_sub_f16_e32 v14, v36, v41
	v_fma_f16 v18, v14, s7, v12
	v_fma_f16 v35, v20, s7, v16
	;; [unrolled: 1-line block ×3, first 2 shown]
	v_add_f16_e32 v20, v55, v36
	v_mul_f16_e32 v36, 0x3aee, v18
	v_fma_f16 v12, v14, s6, v12
	v_fma_f16 v36, v45, 0.5, v36
	v_mul_f16_e32 v48, -0.5, v37
	v_mul_f16_e32 v45, 0xbaee, v45
	v_fma_f16 v48, v12, s6, v48
	v_fma_f16 v18, v18, 0.5, v45
	v_mul_f16_e32 v12, -0.5, v12
	v_add_f16_e32 v20, v20, v41
	v_add_f16_e32 v45, v35, v18
	v_fma_f16 v12, v37, s7, v12
	v_sub_f16_e32 v18, v35, v18
	v_mov_b32_e32 v35, 2
	v_add_f16_e32 v14, v15, v20
	v_add_f16_e32 v41, v44, v36
	;; [unrolled: 1-line block ×4, first 2 shown]
	v_sub_f16_e32 v15, v15, v20
	v_sub_f16_e32 v20, v44, v36
	v_sub_f16_e32 v36, v39, v40
	v_sub_f16_e32 v12, v16, v12
	v_mul_u32_u24_e32 v16, 0x1b0, v52
	v_lshlrev_b32_sdwa v39, v35, v53 dst_sel:DWORD dst_unused:UNUSED_PAD src0_sel:DWORD src1_sel:BYTE_0
	v_add_f16_e32 v54, v34, v50
	v_add3_u32 v16, 0, v16, v39
	v_pack_b32_f16 v13, v13, v56
	v_pack_b32_f16 v39, v46, v49
	v_sub_f16_e32 v34, v34, v50
	ds_write2_b32 v16, v13, v39 offset1:18
	v_pack_b32_f16 v13, v54, v43
	v_pack_b32_f16 v19, v19, v42
	ds_write2_b32 v16, v13, v19 offset0:36 offset1:54
	v_pack_b32_f16 v13, v38, v17
	v_pack_b32_f16 v11, v34, v11
	ds_write2_b32 v16, v13, v11 offset0:72 offset1:90
	v_mul_u32_u24_e32 v11, 0x1b0, v47
	v_lshlrev_b32_sdwa v13, v35, v51 dst_sel:DWORD dst_unused:UNUSED_PAD src0_sel:DWORD src1_sel:BYTE_0
	v_add_f16_e32 v50, v5, v48
	v_add3_u32 v11, 0, v11, v13
	v_pack_b32_f16 v13, v14, v55
	v_pack_b32_f16 v14, v41, v45
	v_sub_f16_e32 v5, v5, v48
	ds_write2_b32 v11, v13, v14 offset1:18
	v_pack_b32_f16 v13, v50, v37
	v_pack_b32_f16 v14, v15, v36
	ds_write2_b32 v11, v13, v14 offset0:36 offset1:54
	v_pack_b32_f16 v13, v20, v18
	v_pack_b32_f16 v5, v5, v12
	ds_write2_b32 v11, v13, v5 offset0:72 offset1:90
	s_and_saveexec_b64 s[4:5], s[0:1]
	s_cbranch_execz .LBB0_23
; %bb.22:
	s_mov_b32 s0, 0xe38f
	v_mul_u32_u24_sdwa v5, v10, s0 dst_sel:DWORD dst_unused:UNUSED_PAD src0_sel:WORD_0 src1_sel:DWORD
	v_lshrrev_b32_e32 v5, 20, v5
	v_mul_lo_u16_e32 v11, 18, v5
	v_sub_u16_e32 v15, v10, v11
	v_mul_u32_u24_e32 v11, 5, v15
	v_lshlrev_b32_e32 v16, 2, v11
	global_load_dwordx4 v[11:14], v16, s[8:9] offset:60
	global_load_dword v17, v16, s[8:9] offset:76
	v_mul_lo_u16_e32 v5, 0x6c, v5
	v_lshlrev_b32_e32 v5, 2, v5
	v_lshlrev_b32_e32 v15, 2, v15
	v_add3_u32 v5, 0, v15, v5
	s_waitcnt vmcnt(1)
	v_mul_f16_sdwa v15, v32, v12 dst_sel:DWORD dst_unused:UNUSED_PAD src0_sel:DWORD src1_sel:WORD_1
	v_mul_f16_sdwa v16, v33, v14 dst_sel:DWORD dst_unused:UNUSED_PAD src0_sel:DWORD src1_sel:WORD_1
	;; [unrolled: 1-line block ×5, first 2 shown]
	s_waitcnt vmcnt(0)
	v_mul_f16_sdwa v35, v31, v17 dst_sel:DWORD dst_unused:UNUSED_PAD src0_sel:DWORD src1_sel:WORD_1
	v_mul_f16_sdwa v36, v25, v13 dst_sel:DWORD dst_unused:UNUSED_PAD src0_sel:DWORD src1_sel:WORD_1
	;; [unrolled: 1-line block ×5, first 2 shown]
	v_fma_f16 v15, v26, v12, -v15
	v_fma_f16 v16, v27, v14, -v16
	v_fma_f16 v12, v32, v12, v18
	v_fma_f16 v14, v33, v14, v19
	v_fma_f16 v18, v25, v13, -v34
	v_fma_f16 v19, v28, v17, -v35
	v_fma_f16 v13, v30, v13, v36
	v_fma_f16 v17, v31, v17, v37
	v_fma_f16 v7, v7, v11, -v20
	v_fma_f16 v11, v29, v11, v38
	v_add_f16_e32 v26, v18, v19
	v_add_f16_e32 v29, v13, v17
	v_sub_f16_e32 v20, v15, v16
	v_add_f16_e32 v25, v12, v14
	v_sub_f16_e32 v27, v13, v17
	v_sub_f16_e32 v28, v18, v19
	v_add_f16_e32 v30, v24, v12
	v_add_f16_e32 v13, v11, v13
	;; [unrolled: 1-line block ×5, first 2 shown]
	v_fma_f16 v7, v26, -0.5, v7
	v_fma_f16 v11, v29, -0.5, v11
	v_sub_f16_e32 v12, v12, v14
	v_fma_f16 v24, v25, -0.5, v24
	v_add_f16_e32 v14, v30, v14
	v_add_f16_e32 v13, v13, v17
	v_fma_f16 v1, v31, -0.5, v1
	v_add_f16_e32 v15, v15, v16
	v_add_f16_e32 v16, v18, v19
	v_fma_f16 v18, v27, s7, v7
	v_fma_f16 v19, v28, s6, v11
	;; [unrolled: 1-line block ×6, first 2 shown]
	v_sub_f16_e32 v24, v14, v13
	v_fma_f16 v25, v12, s7, v1
	v_fma_f16 v1, v12, s6, v1
	v_sub_f16_e32 v12, v15, v16
	v_add_f16_e32 v13, v14, v13
	v_add_f16_e32 v14, v15, v16
	v_mul_f16_e32 v16, 0xbaee, v7
	v_mul_f16_e32 v27, 0x3aee, v11
	v_mul_f16_e32 v15, -0.5, v19
	v_mul_f16_e32 v26, -0.5, v18
	v_fma_f16 v11, v11, 0.5, v16
	v_fma_f16 v7, v7, 0.5, v27
	v_pack_b32_f16 v13, v14, v13
	v_pack_b32_f16 v12, v12, v24
	v_fma_f16 v14, v18, s7, v15
	v_fma_f16 v15, v19, s6, v26
	v_sub_f16_e32 v18, v20, v11
	v_sub_f16_e32 v24, v1, v7
	v_add_f16_e32 v11, v20, v11
	v_add_f16_e32 v1, v1, v7
	v_sub_f16_e32 v16, v17, v14
	v_sub_f16_e32 v19, v25, v15
	v_add_f16_e32 v14, v17, v14
	v_add_f16_e32 v15, v25, v15
	v_pack_b32_f16 v1, v1, v11
	v_pack_b32_f16 v7, v15, v14
	v_pack_b32_f16 v11, v24, v18
	v_pack_b32_f16 v14, v19, v16
	ds_write2_b32 v5, v13, v1 offset1:18
	ds_write2_b32 v5, v7, v12 offset0:36 offset1:54
	ds_write2_b32 v5, v11, v14 offset0:72 offset1:90
.LBB0_23:
	s_or_b64 exec, exec, s[4:5]
	v_mul_u32_u24_e32 v1, 15, v0
	v_lshlrev_b32_e32 v1, 2, v1
	s_waitcnt lgkmcnt(0)
	s_barrier
	global_load_dwordx4 v[17:20], v1, s[8:9] offset:420
	global_load_dwordx4 v[24:27], v1, s[8:9] offset:436
	;; [unrolled: 1-line block ×3, first 2 shown]
	ds_read_b32 v5, v21
	ds_read_b32 v7, v22
	global_load_dwordx3 v[11:13], v1, s[8:9] offset:468
	v_lshl_add_u32 v16, v9, 2, 0
	v_lshl_add_u32 v15, v6, 2, 0
	;; [unrolled: 1-line block ×3, first 2 shown]
	v_add_u32_e32 v1, 0x800, v21
	v_add_u32_e32 v42, 0xc00, v21
	;; [unrolled: 1-line block ×5, first 2 shown]
	ds_read_b32 v46, v16
	ds_read_b32 v47, v15
	;; [unrolled: 1-line block ×4, first 2 shown]
	ds_read2_b32 v[32:33], v1 offset0:136 offset1:244
	ds_read2_b32 v[34:35], v42 offset0:96 offset1:204
	;; [unrolled: 1-line block ×5, first 2 shown]
	s_waitcnt lgkmcnt(6)
	v_lshrrev_b32_e32 v50, 16, v48
	v_lshrrev_b32_e32 v51, 16, v7
	;; [unrolled: 1-line block ×4, first 2 shown]
	s_waitcnt lgkmcnt(4)
	v_lshrrev_b32_e32 v53, 16, v32
	v_lshrrev_b32_e32 v54, 16, v33
	;; [unrolled: 1-line block ×3, first 2 shown]
	s_waitcnt lgkmcnt(3)
	v_lshrrev_b32_e32 v55, 16, v34
	v_lshrrev_b32_e32 v56, 16, v35
	s_mov_b32 s0, 0xb9a8
	s_movk_i32 s1, 0x39a8
	s_mov_b32 s4, 0xbb64
	s_mov_b32 s5, 0xb61f
	s_movk_i32 s6, 0x361f
	s_movk_i32 s7, 0x3b64
	s_waitcnt vmcnt(0) lgkmcnt(0)
	s_barrier
	v_mul_f16_sdwa v59, v17, v50 dst_sel:DWORD dst_unused:UNUSED_PAD src0_sel:WORD_1 src1_sel:DWORD
	v_fma_f16 v59, v17, v48, -v59
	v_mul_f16_sdwa v48, v17, v48 dst_sel:DWORD dst_unused:UNUSED_PAD src0_sel:WORD_1 src1_sel:DWORD
	v_fma_f16 v17, v17, v50, v48
	v_mul_f16_sdwa v48, v18, v51 dst_sel:DWORD dst_unused:UNUSED_PAD src0_sel:WORD_1 src1_sel:DWORD
	v_fma_f16 v48, v18, v7, -v48
	v_mul_f16_sdwa v7, v18, v7 dst_sel:DWORD dst_unused:UNUSED_PAD src0_sel:WORD_1 src1_sel:DWORD
	v_fma_f16 v7, v18, v51, v7
	;; [unrolled: 4-line block ×4, first 2 shown]
	v_mul_f16_sdwa v51, v53, v25 dst_sel:DWORD dst_unused:UNUSED_PAD src0_sel:DWORD src1_sel:WORD_1
	v_mul_f16_sdwa v58, v54, v26 dst_sel:DWORD dst_unused:UNUSED_PAD src0_sel:DWORD src1_sel:WORD_1
	;; [unrolled: 1-line block ×3, first 2 shown]
	v_fma_f16 v32, v32, v25, -v51
	v_fma_f16 v51, v33, v26, -v58
	v_mul_f16_sdwa v33, v33, v26 dst_sel:DWORD dst_unused:UNUSED_PAD src0_sel:DWORD src1_sel:WORD_1
	v_fma_f16 v26, v54, v26, v33
	v_mul_f16_sdwa v33, v34, v27 dst_sel:DWORD dst_unused:UNUSED_PAD src0_sel:DWORD src1_sel:WORD_1
	v_lshrrev_b32_e32 v47, 16, v36
	v_lshrrev_b32_e32 v50, 16, v37
	v_mul_f16_sdwa v58, v52, v24 dst_sel:DWORD dst_unused:UNUSED_PAD src0_sel:DWORD src1_sel:WORD_1
	v_fma_f16 v25, v53, v25, v57
	v_fma_f16 v33, v55, v27, v33
	v_mul_f16_sdwa v53, v55, v27 dst_sel:DWORD dst_unused:UNUSED_PAD src0_sel:DWORD src1_sel:WORD_1
	v_mul_f16_sdwa v54, v56, v28 dst_sel:DWORD dst_unused:UNUSED_PAD src0_sel:DWORD src1_sel:WORD_1
	;; [unrolled: 1-line block ×3, first 2 shown]
	v_fma_f16 v58, v49, v24, -v58
	v_mul_f16_sdwa v49, v49, v24 dst_sel:DWORD dst_unused:UNUSED_PAD src0_sel:DWORD src1_sel:WORD_1
	v_fma_f16 v35, v35, v28, -v54
	v_mul_f16_sdwa v54, v47, v29 dst_sel:DWORD dst_unused:UNUSED_PAD src0_sel:DWORD src1_sel:WORD_1
	v_mul_f16_sdwa v57, v36, v29 dst_sel:DWORD dst_unused:UNUSED_PAD src0_sel:DWORD src1_sel:WORD_1
	v_fma_f16 v28, v56, v28, v55
	v_mul_f16_sdwa v55, v50, v30 dst_sel:DWORD dst_unused:UNUSED_PAD src0_sel:DWORD src1_sel:WORD_1
	v_fma_f16 v24, v52, v24, v49
	v_lshrrev_b32_e32 v49, 16, v38
	v_fma_f16 v36, v36, v29, -v54
	v_fma_f16 v29, v47, v29, v57
	v_fma_f16 v47, v37, v30, -v55
	v_mul_f16_sdwa v37, v37, v30 dst_sel:DWORD dst_unused:UNUSED_PAD src0_sel:DWORD src1_sel:WORD_1
	v_fma_f16 v30, v50, v30, v37
	v_mul_f16_sdwa v37, v49, v31 dst_sel:DWORD dst_unused:UNUSED_PAD src0_sel:DWORD src1_sel:WORD_1
	v_lshrrev_b32_e32 v52, 16, v39
	v_fma_f16 v37, v38, v31, -v37
	v_mul_f16_sdwa v38, v38, v31 dst_sel:DWORD dst_unused:UNUSED_PAD src0_sel:DWORD src1_sel:WORD_1
	v_fma_f16 v31, v49, v31, v38
	v_mul_f16_sdwa v38, v52, v11 dst_sel:DWORD dst_unused:UNUSED_PAD src0_sel:DWORD src1_sel:WORD_1
	v_fma_f16 v27, v34, v27, -v53
	v_lshrrev_b32_e32 v34, 16, v40
	v_fma_f16 v38, v39, v11, -v38
	v_mul_f16_sdwa v39, v39, v11 dst_sel:DWORD dst_unused:UNUSED_PAD src0_sel:DWORD src1_sel:WORD_1
	v_fma_f16 v11, v52, v11, v39
	v_mul_f16_sdwa v39, v34, v12 dst_sel:DWORD dst_unused:UNUSED_PAD src0_sel:DWORD src1_sel:WORD_1
	v_lshrrev_b32_e32 v53, 16, v41
	v_fma_f16 v39, v40, v12, -v39
	v_mul_f16_sdwa v40, v40, v12 dst_sel:DWORD dst_unused:UNUSED_PAD src0_sel:DWORD src1_sel:WORD_1
	v_fma_f16 v12, v34, v12, v40
	v_mul_f16_sdwa v34, v53, v13 dst_sel:DWORD dst_unused:UNUSED_PAD src0_sel:DWORD src1_sel:WORD_1
	v_mul_f16_sdwa v40, v41, v13 dst_sel:DWORD dst_unused:UNUSED_PAD src0_sel:DWORD src1_sel:WORD_1
	v_fma_f16 v34, v41, v13, -v34
	v_fma_f16 v13, v53, v13, v40
	v_lshrrev_b32_e32 v40, 16, v5
	v_sub_f16_e32 v27, v5, v27
	v_sub_f16_e32 v33, v40, v33
	;; [unrolled: 1-line block ×8, first 2 shown]
	v_fma_f16 v41, v46, 2.0, -v37
	v_fma_f16 v20, v20, 2.0, -v31
	;; [unrolled: 1-line block ×4, first 2 shown]
	v_sub_f16_e32 v31, v27, v31
	v_add_f16_e32 v37, v33, v37
	v_sub_f16_e32 v12, v36, v12
	v_add_f16_e32 v39, v29, v39
	v_fma_f16 v5, v5, 2.0, -v27
	v_fma_f16 v40, v40, 2.0, -v33
	;; [unrolled: 1-line block ×4, first 2 shown]
	v_sub_f16_e32 v35, v59, v35
	v_sub_f16_e32 v28, v17, v28
	;; [unrolled: 1-line block ×8, first 2 shown]
	v_fma_f16 v27, v27, 2.0, -v31
	v_fma_f16 v33, v33, 2.0, -v37
	;; [unrolled: 1-line block ×8, first 2 shown]
	v_sub_f16_e32 v11, v35, v11
	v_add_f16_e32 v38, v28, v38
	v_sub_f16_e32 v13, v47, v13
	v_add_f16_e32 v34, v30, v34
	v_fma_f16 v51, v36, s0, v27
	v_fma_f16 v52, v29, s0, v33
	v_fma_f16 v48, v59, 2.0, -v35
	v_fma_f16 v17, v17, 2.0, -v28
	;; [unrolled: 1-line block ×8, first 2 shown]
	v_fma_f16 v29, v29, s0, v51
	v_fma_f16 v36, v36, s1, v52
	;; [unrolled: 1-line block ×8, first 2 shown]
	v_sub_f16_e32 v41, v5, v41
	v_sub_f16_e32 v20, v40, v20
	;; [unrolled: 1-line block ×8, first 2 shown]
	v_fma_f16 v30, v30, s0, v51
	v_fma_f16 v47, v47, s1, v52
	v_fma_f16 v46, v46, 2.0, -v32
	v_fma_f16 v7, v7, 2.0, -v25
	;; [unrolled: 1-line block ×6, first 2 shown]
	v_sub_f16_e32 v25, v41, v25
	v_add_f16_e32 v32, v20, v32
	v_fma_f16 v35, v35, 2.0, -v30
	v_fma_f16 v28, v28, 2.0, -v47
	v_sub_f16_e32 v26, v49, v26
	v_add_f16_e32 v50, v24, v50
	v_fma_f16 v51, v13, s1, v11
	v_fma_f16 v52, v34, s1, v38
	v_fma_f16 v5, v5, 2.0, -v41
	v_fma_f16 v40, v40, 2.0, -v20
	;; [unrolled: 1-line block ×8, first 2 shown]
	v_fma_f16 v34, v34, s0, v51
	v_fma_f16 v13, v13, s1, v52
	;; [unrolled: 1-line block ×4, first 2 shown]
	v_sub_f16_e32 v46, v5, v46
	v_sub_f16_e32 v7, v40, v7
	v_fma_f16 v31, v31, 2.0, -v39
	v_fma_f16 v37, v37, 2.0, -v12
	v_sub_f16_e32 v18, v48, v18
	v_sub_f16_e32 v19, v17, v19
	v_fma_f16 v11, v11, 2.0, -v34
	v_fma_f16 v38, v38, 2.0, -v13
	v_fma_f16 v28, v28, s5, v51
	v_fma_f16 v35, v35, s6, v52
	;; [unrolled: 1-line block ×4, first 2 shown]
	v_fma_f16 v5, v5, 2.0, -v46
	v_fma_f16 v40, v40, 2.0, -v7
	;; [unrolled: 1-line block ×4, first 2 shown]
	v_fma_f16 v24, v24, s0, v51
	v_fma_f16 v49, v49, s1, v52
	;; [unrolled: 1-line block ×4, first 2 shown]
	v_sub_f16_e32 v48, v5, v48
	v_sub_f16_e32 v17, v40, v17
	v_fma_f16 v38, v38, s4, v51
	v_fma_f16 v11, v11, s7, v52
	;; [unrolled: 1-line block ×4, first 2 shown]
	v_fma_f16 v5, v5, 2.0, -v48
	v_fma_f16 v40, v40, 2.0, -v17
	;; [unrolled: 1-line block ×4, first 2 shown]
	v_fma_f16 v47, v47, s4, v51
	v_fma_f16 v30, v30, s7, v52
	;; [unrolled: 1-line block ×4, first 2 shown]
	v_fma_f16 v41, v41, 2.0, -v24
	v_fma_f16 v20, v20, 2.0, -v49
	;; [unrolled: 1-line block ×4, first 2 shown]
	v_sub_f16_e32 v19, v46, v19
	v_add_f16_e32 v18, v7, v18
	v_fma_f16 v50, v50, s0, v51
	v_fma_f16 v26, v26, s1, v52
	v_fma_f16 v51, v34, s7, v39
	v_fma_f16 v52, v13, s7, v12
	v_pack_b32_f16 v5, v5, v40
	v_pack_b32_f16 v27, v27, v33
	v_fma_f16 v46, v46, 2.0, -v19
	v_fma_f16 v7, v7, 2.0, -v18
	;; [unrolled: 1-line block ×4, first 2 shown]
	v_fma_f16 v13, v13, s5, v51
	v_fma_f16 v34, v34, s6, v52
	ds_write2_b32 v21, v5, v27 offset1:108
	v_pack_b32_f16 v5, v41, v20
	v_pack_b32_f16 v20, v31, v37
	v_add_u32_e32 v27, 0x200, v21
	v_fma_f16 v25, v25, 2.0, -v50
	v_fma_f16 v32, v32, 2.0, -v26
	;; [unrolled: 1-line block ×4, first 2 shown]
	ds_write2_b32 v27, v5, v20 offset0:88 offset1:196
	v_pack_b32_f16 v5, v46, v7
	v_pack_b32_f16 v7, v29, v36
	v_add_u32_e32 v20, 0x600, v21
	ds_write2_b32 v20, v5, v7 offset0:48 offset1:156
	v_pack_b32_f16 v5, v25, v32
	v_pack_b32_f16 v7, v39, v12
	ds_write2_b32 v1, v5, v7 offset0:136 offset1:244
	v_pack_b32_f16 v1, v48, v17
	v_pack_b32_f16 v5, v28, v35
	;; [unrolled: 3-line block ×5, first 2 shown]
	ds_write2_b32 v45, v1, v5 offset0:104 offset1:212
	s_waitcnt lgkmcnt(0)
	s_barrier
	ds_read_b32 v5, v21
	s_add_u32 s6, s8, 0x1af4
	v_lshlrev_b32_e32 v1, 2, v0
	s_addc_u32 s7, s9, 0
	v_sub_u32_e32 v17, 0, v1
	v_cmp_ne_u32_e64 s[0:1], 0, v0
                                        ; implicit-def: $vgpr19
                                        ; implicit-def: $vgpr7
                                        ; implicit-def: $vgpr18
                                        ; implicit-def: $vgpr12_vgpr13
	s_and_saveexec_b64 s[4:5], s[0:1]
	s_xor_b64 s[4:5], exec, s[4:5]
	s_cbranch_execz .LBB0_25
; %bb.24:
	v_mov_b32_e32 v1, 0
	v_lshlrev_b64 v[11:12], 2, v[0:1]
	v_mov_b32_e32 v7, s7
	v_add_co_u32_e64 v11, s[0:1], s6, v11
	v_addc_co_u32_e64 v12, s[0:1], v7, v12, s[0:1]
	global_load_dword v7, v[11:12], off
	ds_read_b32 v11, v17 offset:6912
	s_mov_b32 s0, 0xffff
	s_waitcnt lgkmcnt(0)
	v_pk_add_f16 v12, v5, v11 neg_lo:[0,1] neg_hi:[0,1]
	v_pk_add_f16 v5, v11, v5
	v_bfi_b32 v11, s0, v12, v5
	v_pk_mul_f16 v11, v11, 0.5 op_sel_hi:[1,0]
	v_bfi_b32 v5, s0, v5, v12
	v_pk_mul_f16 v12, v5, 0.5 op_sel_hi:[1,0]
	s_waitcnt vmcnt(0)
	v_pk_mul_f16 v13, v7, v11 op_sel:[1,0]
	v_pk_mul_f16 v11, v7, v11 op_sel_hi:[0,1]
	v_pk_fma_f16 v5, v5, 0.5, v13 op_sel_hi:[1,0,1]
	v_sub_f16_e32 v7, v12, v13
	v_sub_f16_sdwa v12, v13, v12 dst_sel:DWORD dst_unused:UNUSED_PAD src0_sel:WORD_1 src1_sel:WORD_1
	v_pk_add_f16 v13, v5, v11 op_sel:[0,1] op_sel_hi:[1,0]
	v_pk_add_f16 v5, v5, v11 op_sel:[0,1] op_sel_hi:[1,0] neg_lo:[0,1] neg_hi:[0,1]
	v_sub_f16_e32 v18, v12, v11
	v_bfi_b32 v19, s0, v13, v5
	v_mov_b32_e32 v13, v1
	v_sub_f16_sdwa v7, v7, v11 dst_sel:DWORD dst_unused:UNUSED_PAD src0_sel:DWORD src1_sel:WORD_1
	v_mov_b32_e32 v12, v0
                                        ; implicit-def: $vgpr5
.LBB0_25:
	s_andn2_saveexec_b64 s[0:1], s[4:5]
	s_cbranch_execz .LBB0_27
; %bb.26:
	v_mov_b32_e32 v18, 0
	ds_read_u16 v1, v18 offset:3458
	s_waitcnt lgkmcnt(1)
	v_alignbit_b32 v11, s0, v5, 16
	v_sub_f16_sdwa v7, v5, v5 dst_sel:DWORD dst_unused:UNUSED_PAD src0_sel:DWORD src1_sel:WORD_1
	v_mov_b32_e32 v12, 0
	v_pk_add_f16 v5, v11, v5
	v_mov_b32_e32 v13, 0
	s_waitcnt lgkmcnt(0)
	v_xor_b32_e32 v1, 0x8000, v1
	v_pack_b32_f16 v19, v5, 0
	ds_write_b16 v18, v1 offset:3458
.LBB0_27:
	s_or_b64 exec, exec, s[0:1]
	s_waitcnt lgkmcnt(0)
	v_mov_b32_e32 v5, 0
	v_lshlrev_b64 v[24:25], 2, v[4:5]
	v_mov_b32_e32 v1, s7
	v_add_co_u32_e64 v24, s[0:1], s6, v24
	v_addc_co_u32_e64 v25, s[0:1], v1, v25, s[0:1]
	global_load_dword v1, v[24:25], off
	v_mov_b32_e32 v11, v5
	v_lshlrev_b64 v[10:11], 2, v[10:11]
	v_mov_b32_e32 v4, s7
	v_add_co_u32_e64 v10, s[0:1], s6, v10
	v_addc_co_u32_e64 v11, s[0:1], v4, v11, s[0:1]
	global_load_dword v20, v[10:11], off
	v_mov_b32_e32 v10, v5
	v_lshlrev_b64 v[9:10], 2, v[9:10]
	ds_write_b16 v17, v18 offset:6914
	ds_write_b32 v21, v19
	ds_write_b16 v17, v7 offset:6912
	v_add_co_u32_e64 v9, s[0:1], s6, v9
	v_addc_co_u32_e64 v10, s[0:1], v4, v10, s[0:1]
	global_load_dword v19, v[9:10], off
	v_lshlrev_b64 v[10:11], 2, v[12:13]
	v_mov_b32_e32 v7, v5
	v_mov_b32_e32 v9, v5
	;; [unrolled: 1-line block ×3, first 2 shown]
	v_lshlrev_b64 v[4:5], 2, v[6:7]
	v_lshlrev_b64 v[6:7], 2, v[8:9]
	v_add_co_u32_e64 v8, s[0:1], s6, v10
	v_addc_co_u32_e64 v9, s[0:1], v12, v11, s[0:1]
	v_mov_b32_e32 v18, s7
	v_add_co_u32_e64 v4, s[0:1], s6, v4
	v_addc_co_u32_e64 v5, s[0:1], v18, v5, s[0:1]
	v_mov_b32_e32 v24, s7
	v_add_co_u32_e64 v6, s[0:1], s6, v6
	ds_read_b32 v13, v23
	ds_read_b32 v25, v17 offset:6480
	v_addc_co_u32_e64 v7, s[0:1], v24, v7, s[0:1]
	global_load_dword v12, v[4:5], off
	global_load_dword v18, v[6:7], off
	global_load_dword v24, v[8:9], off offset:2592
	global_load_dword v26, v[8:9], off offset:3024
	s_mov_b32 s4, 0xffff
	s_waitcnt lgkmcnt(0)
	v_pk_add_f16 v4, v13, v25 neg_lo:[0,1] neg_hi:[0,1]
	v_pk_add_f16 v5, v13, v25
	v_bfi_b32 v6, s4, v4, v5
	v_bfi_b32 v4, s4, v5, v4
	v_pk_mul_f16 v5, v6, 0.5 op_sel_hi:[1,0]
	v_pk_mul_f16 v4, v4, 0.5 op_sel_hi:[1,0]
	s_waitcnt vmcnt(6)
	v_pk_fma_f16 v6, v1, v5, v4 op_sel:[1,0,0]
	v_pk_mul_f16 v7, v1, v5 op_sel_hi:[0,1]
	v_pk_fma_f16 v8, v1, v5, v4 op_sel:[1,0,0] neg_lo:[1,0,0] neg_hi:[1,0,0]
	v_pk_fma_f16 v1, v1, v5, v4 op_sel:[1,0,0] neg_lo:[0,0,1] neg_hi:[0,0,1]
	v_pk_add_f16 v4, v6, v7 op_sel:[0,1] op_sel_hi:[1,0]
	v_pk_add_f16 v5, v6, v7 op_sel:[0,1] op_sel_hi:[1,0] neg_lo:[0,1] neg_hi:[0,1]
	v_pk_add_f16 v6, v8, v7 op_sel:[0,1] op_sel_hi:[1,0] neg_lo:[0,1] neg_hi:[0,1]
	v_pk_add_f16 v1, v1, v7 op_sel:[0,1] op_sel_hi:[1,0] neg_lo:[0,1] neg_hi:[0,1]
	v_bfi_b32 v4, s4, v4, v5
	v_bfi_b32 v1, s4, v6, v1
	ds_write_b32 v23, v4
	ds_write_b32 v17, v1 offset:6480
	ds_read_b32 v1, v22
	ds_read_b32 v4, v17 offset:6048
	s_waitcnt lgkmcnt(0)
	v_pk_add_f16 v5, v1, v4 neg_lo:[0,1] neg_hi:[0,1]
	v_pk_add_f16 v1, v1, v4
	v_bfi_b32 v4, s4, v5, v1
	v_bfi_b32 v1, s4, v1, v5
	v_pk_mul_f16 v4, v4, 0.5 op_sel_hi:[1,0]
	v_pk_mul_f16 v1, v1, 0.5 op_sel_hi:[1,0]
	s_waitcnt vmcnt(5)
	v_pk_fma_f16 v5, v20, v4, v1 op_sel:[1,0,0]
	v_pk_mul_f16 v6, v20, v4 op_sel_hi:[0,1]
	v_pk_fma_f16 v7, v20, v4, v1 op_sel:[1,0,0] neg_lo:[1,0,0] neg_hi:[1,0,0]
	v_pk_fma_f16 v1, v20, v4, v1 op_sel:[1,0,0] neg_lo:[0,0,1] neg_hi:[0,0,1]
	v_pk_add_f16 v4, v5, v6 op_sel:[0,1] op_sel_hi:[1,0]
	v_pk_add_f16 v5, v5, v6 op_sel:[0,1] op_sel_hi:[1,0] neg_lo:[0,1] neg_hi:[0,1]
	v_pk_add_f16 v7, v7, v6 op_sel:[0,1] op_sel_hi:[1,0] neg_lo:[0,1] neg_hi:[0,1]
	v_pk_add_f16 v1, v1, v6 op_sel:[0,1] op_sel_hi:[1,0] neg_lo:[0,1] neg_hi:[0,1]
	v_bfi_b32 v4, s4, v4, v5
	v_bfi_b32 v1, s4, v7, v1
	ds_write_b32 v22, v4
	ds_write_b32 v17, v1 offset:6048
	ds_read_b32 v1, v16
	ds_read_b32 v4, v17 offset:5616
	;; [unrolled: 22-line block ×3, first 2 shown]
	s_waitcnt lgkmcnt(0)
	v_pk_add_f16 v5, v1, v4 neg_lo:[0,1] neg_hi:[0,1]
	v_pk_add_f16 v1, v1, v4
	v_bfi_b32 v4, s4, v5, v1
	v_bfi_b32 v1, s4, v1, v5
	v_pk_mul_f16 v4, v4, 0.5 op_sel_hi:[1,0]
	v_pk_mul_f16 v1, v1, 0.5 op_sel_hi:[1,0]
	s_waitcnt vmcnt(3)
	v_pk_fma_f16 v5, v12, v4, v1 op_sel:[1,0,0]
	v_pk_mul_f16 v6, v12, v4 op_sel_hi:[0,1]
	v_pk_add_f16 v7, v5, v6 op_sel:[0,1] op_sel_hi:[1,0]
	v_pk_add_f16 v5, v5, v6 op_sel:[0,1] op_sel_hi:[1,0] neg_lo:[0,1] neg_hi:[0,1]
	v_bfi_b32 v5, s4, v7, v5
	v_pk_fma_f16 v7, v12, v4, v1 op_sel:[1,0,0] neg_lo:[1,0,0] neg_hi:[1,0,0]
	v_pk_fma_f16 v1, v12, v4, v1 op_sel:[1,0,0] neg_lo:[0,0,1] neg_hi:[0,0,1]
	v_pk_add_f16 v7, v7, v6 op_sel:[0,1] op_sel_hi:[1,0] neg_lo:[0,1] neg_hi:[0,1]
	v_pk_add_f16 v1, v1, v6 op_sel:[0,1] op_sel_hi:[1,0] neg_lo:[0,1] neg_hi:[0,1]
	v_bfi_b32 v1, s4, v7, v1
	ds_write_b32 v15, v5
	ds_write_b32 v17, v1 offset:5184
	ds_read_b32 v1, v14
	ds_read_b32 v4, v17 offset:4752
	s_waitcnt lgkmcnt(0)
	v_pk_add_f16 v5, v1, v4 neg_lo:[0,1] neg_hi:[0,1]
	v_pk_add_f16 v1, v1, v4
	v_bfi_b32 v4, s4, v5, v1
	v_bfi_b32 v1, s4, v1, v5
	v_pk_mul_f16 v4, v4, 0.5 op_sel_hi:[1,0]
	v_pk_mul_f16 v1, v1, 0.5 op_sel_hi:[1,0]
	s_waitcnt vmcnt(2)
	v_pk_fma_f16 v5, v18, v4, v1 op_sel:[1,0,0]
	v_pk_mul_f16 v6, v18, v4 op_sel_hi:[0,1]
	v_pk_add_f16 v7, v5, v6 op_sel:[0,1] op_sel_hi:[1,0]
	v_pk_add_f16 v5, v5, v6 op_sel:[0,1] op_sel_hi:[1,0] neg_lo:[0,1] neg_hi:[0,1]
	v_bfi_b32 v5, s4, v7, v5
	v_pk_fma_f16 v7, v18, v4, v1 op_sel:[1,0,0] neg_lo:[1,0,0] neg_hi:[1,0,0]
	v_pk_fma_f16 v1, v18, v4, v1 op_sel:[1,0,0] neg_lo:[0,0,1] neg_hi:[0,0,1]
	v_pk_add_f16 v7, v7, v6 op_sel:[0,1] op_sel_hi:[1,0] neg_lo:[0,1] neg_hi:[0,1]
	v_pk_add_f16 v1, v1, v6 op_sel:[0,1] op_sel_hi:[1,0] neg_lo:[0,1] neg_hi:[0,1]
	v_bfi_b32 v1, s4, v7, v1
	ds_write_b32 v14, v5
	ds_write_b32 v17, v1 offset:4752
	ds_read_b32 v1, v21 offset:2592
	ds_read_b32 v4, v17 offset:4320
	s_waitcnt lgkmcnt(0)
	v_pk_add_f16 v5, v1, v4 neg_lo:[0,1] neg_hi:[0,1]
	v_pk_add_f16 v1, v1, v4
	v_bfi_b32 v4, s4, v5, v1
	v_bfi_b32 v1, s4, v1, v5
	v_pk_mul_f16 v4, v4, 0.5 op_sel_hi:[1,0]
	v_pk_mul_f16 v1, v1, 0.5 op_sel_hi:[1,0]
	s_waitcnt vmcnt(1)
	v_pk_fma_f16 v5, v24, v4, v1 op_sel:[1,0,0]
	v_pk_mul_f16 v6, v24, v4 op_sel_hi:[0,1]
	v_pk_add_f16 v7, v5, v6 op_sel:[0,1] op_sel_hi:[1,0]
	v_pk_add_f16 v5, v5, v6 op_sel:[0,1] op_sel_hi:[1,0] neg_lo:[0,1] neg_hi:[0,1]
	v_bfi_b32 v5, s4, v7, v5
	v_pk_fma_f16 v7, v24, v4, v1 op_sel:[1,0,0] neg_lo:[1,0,0] neg_hi:[1,0,0]
	v_pk_fma_f16 v1, v24, v4, v1 op_sel:[1,0,0] neg_lo:[0,0,1] neg_hi:[0,0,1]
	v_pk_add_f16 v7, v7, v6 op_sel:[0,1] op_sel_hi:[1,0] neg_lo:[0,1] neg_hi:[0,1]
	v_pk_add_f16 v1, v1, v6 op_sel:[0,1] op_sel_hi:[1,0] neg_lo:[0,1] neg_hi:[0,1]
	v_bfi_b32 v1, s4, v7, v1
	ds_write_b32 v21, v5 offset:2592
	ds_write_b32 v17, v1 offset:4320
	ds_read_b32 v1, v21 offset:3024
	ds_read_b32 v4, v17 offset:3888
	s_waitcnt lgkmcnt(0)
	v_pk_add_f16 v5, v1, v4 neg_lo:[0,1] neg_hi:[0,1]
	v_pk_add_f16 v1, v1, v4
	v_bfi_b32 v4, s4, v5, v1
	v_bfi_b32 v1, s4, v1, v5
	v_pk_mul_f16 v4, v4, 0.5 op_sel_hi:[1,0]
	v_pk_mul_f16 v1, v1, 0.5 op_sel_hi:[1,0]
	s_waitcnt vmcnt(0)
	v_pk_fma_f16 v5, v26, v4, v1 op_sel:[1,0,0]
	v_pk_mul_f16 v6, v26, v4 op_sel_hi:[0,1]
	v_pk_add_f16 v7, v5, v6 op_sel:[0,1] op_sel_hi:[1,0]
	v_pk_add_f16 v5, v5, v6 op_sel:[0,1] op_sel_hi:[1,0] neg_lo:[0,1] neg_hi:[0,1]
	v_bfi_b32 v5, s4, v7, v5
	v_pk_fma_f16 v7, v26, v4, v1 op_sel:[1,0,0] neg_lo:[1,0,0] neg_hi:[1,0,0]
	v_pk_fma_f16 v1, v26, v4, v1 op_sel:[1,0,0] neg_lo:[0,0,1] neg_hi:[0,0,1]
	v_pk_add_f16 v7, v7, v6 op_sel:[0,1] op_sel_hi:[1,0] neg_lo:[0,1] neg_hi:[0,1]
	v_pk_add_f16 v1, v1, v6 op_sel:[0,1] op_sel_hi:[1,0] neg_lo:[0,1] neg_hi:[0,1]
	v_bfi_b32 v1, s4, v7, v1
	ds_write_b32 v21, v5 offset:3024
	ds_write_b32 v17, v1 offset:3888
	s_waitcnt lgkmcnt(0)
	s_barrier
	s_and_saveexec_b64 s[0:1], vcc
	s_cbranch_execz .LBB0_30
; %bb.28:
	ds_read2_b32 v[4:5], v21 offset1:108
	v_mov_b32_e32 v1, s3
	v_add_co_u32_e32 v2, vcc, s2, v2
	v_addc_co_u32_e32 v1, vcc, v1, v3, vcc
	v_add_u32_e32 v3, 0x200, v21
	ds_read2_b32 v[6:7], v3 offset0:88 offset1:196
	v_add_co_u32_e32 v8, vcc, v2, v10
	v_addc_co_u32_e32 v9, vcc, v1, v11, vcc
	s_waitcnt lgkmcnt(1)
	global_store_dword v[8:9], v4, off
	global_store_dword v[8:9], v5, off offset:432
	s_waitcnt lgkmcnt(0)
	global_store_dword v[8:9], v6, off offset:864
	global_store_dword v[8:9], v7, off offset:1296
	v_add_u32_e32 v3, 0x600, v21
	ds_read2_b32 v[3:4], v3 offset0:48 offset1:156
	v_add_u32_e32 v5, 0x800, v21
	ds_read2_b32 v[5:6], v5 offset0:136 offset1:244
	;; [unrolled: 2-line block ×3, first 2 shown]
	s_waitcnt lgkmcnt(2)
	global_store_dword v[8:9], v3, off offset:1728
	global_store_dword v[8:9], v4, off offset:2160
	s_waitcnt lgkmcnt(1)
	global_store_dword v[8:9], v5, off offset:2592
	global_store_dword v[8:9], v6, off offset:3024
	;; [unrolled: 3-line block ×3, first 2 shown]
	v_add_u32_e32 v3, 0x1000, v21
	ds_read2_b32 v[3:4], v3 offset0:56 offset1:164
	s_movk_i32 s0, 0x1000
	v_add_u32_e32 v7, 0x1400, v21
	v_add_co_u32_e32 v5, vcc, s0, v8
	ds_read2_b32 v[7:8], v7 offset0:16 offset1:124
	v_addc_co_u32_e32 v6, vcc, 0, v9, vcc
	v_add_u32_e32 v9, 0x1600, v21
	s_movk_i32 s0, 0x6b
	ds_read2_b32 v[9:10], v9 offset0:104 offset1:212
	v_cmp_eq_u32_e32 vcc, s0, v0
	s_waitcnt lgkmcnt(2)
	global_store_dword v[5:6], v3, off offset:224
	global_store_dword v[5:6], v4, off offset:656
	s_waitcnt lgkmcnt(1)
	global_store_dword v[5:6], v7, off offset:1088
	global_store_dword v[5:6], v8, off offset:1520
	;; [unrolled: 3-line block ×3, first 2 shown]
	s_and_b64 exec, exec, vcc
	s_cbranch_execz .LBB0_30
; %bb.29:
	v_mov_b32_e32 v0, 0
	ds_read_b32 v3, v0 offset:6912
	v_add_co_u32_e32 v0, vcc, 0x1000, v2
	v_addc_co_u32_e32 v1, vcc, 0, v1, vcc
	s_waitcnt lgkmcnt(0)
	global_store_dword v[0:1], v3, off offset:2816
.LBB0_30:
	s_endpgm
	.section	.rodata,"a",@progbits
	.p2align	6, 0x0
	.amdhsa_kernel fft_rtc_fwd_len1728_factors_3_6_6_16_wgs_108_tpt_108_halfLds_half_ip_CI_unitstride_sbrr_R2C_dirReg
		.amdhsa_group_segment_fixed_size 0
		.amdhsa_private_segment_fixed_size 0
		.amdhsa_kernarg_size 88
		.amdhsa_user_sgpr_count 6
		.amdhsa_user_sgpr_private_segment_buffer 1
		.amdhsa_user_sgpr_dispatch_ptr 0
		.amdhsa_user_sgpr_queue_ptr 0
		.amdhsa_user_sgpr_kernarg_segment_ptr 1
		.amdhsa_user_sgpr_dispatch_id 0
		.amdhsa_user_sgpr_flat_scratch_init 0
		.amdhsa_user_sgpr_private_segment_size 0
		.amdhsa_uses_dynamic_stack 0
		.amdhsa_system_sgpr_private_segment_wavefront_offset 0
		.amdhsa_system_sgpr_workgroup_id_x 1
		.amdhsa_system_sgpr_workgroup_id_y 0
		.amdhsa_system_sgpr_workgroup_id_z 0
		.amdhsa_system_sgpr_workgroup_info 0
		.amdhsa_system_vgpr_workitem_id 0
		.amdhsa_next_free_vgpr 60
		.amdhsa_next_free_sgpr 22
		.amdhsa_reserve_vcc 1
		.amdhsa_reserve_flat_scratch 0
		.amdhsa_float_round_mode_32 0
		.amdhsa_float_round_mode_16_64 0
		.amdhsa_float_denorm_mode_32 3
		.amdhsa_float_denorm_mode_16_64 3
		.amdhsa_dx10_clamp 1
		.amdhsa_ieee_mode 1
		.amdhsa_fp16_overflow 0
		.amdhsa_exception_fp_ieee_invalid_op 0
		.amdhsa_exception_fp_denorm_src 0
		.amdhsa_exception_fp_ieee_div_zero 0
		.amdhsa_exception_fp_ieee_overflow 0
		.amdhsa_exception_fp_ieee_underflow 0
		.amdhsa_exception_fp_ieee_inexact 0
		.amdhsa_exception_int_div_zero 0
	.end_amdhsa_kernel
	.text
.Lfunc_end0:
	.size	fft_rtc_fwd_len1728_factors_3_6_6_16_wgs_108_tpt_108_halfLds_half_ip_CI_unitstride_sbrr_R2C_dirReg, .Lfunc_end0-fft_rtc_fwd_len1728_factors_3_6_6_16_wgs_108_tpt_108_halfLds_half_ip_CI_unitstride_sbrr_R2C_dirReg
                                        ; -- End function
	.section	.AMDGPU.csdata,"",@progbits
; Kernel info:
; codeLenInByte = 10712
; NumSgprs: 26
; NumVgprs: 60
; ScratchSize: 0
; MemoryBound: 0
; FloatMode: 240
; IeeeMode: 1
; LDSByteSize: 0 bytes/workgroup (compile time only)
; SGPRBlocks: 3
; VGPRBlocks: 14
; NumSGPRsForWavesPerEU: 26
; NumVGPRsForWavesPerEU: 60
; Occupancy: 4
; WaveLimiterHint : 1
; COMPUTE_PGM_RSRC2:SCRATCH_EN: 0
; COMPUTE_PGM_RSRC2:USER_SGPR: 6
; COMPUTE_PGM_RSRC2:TRAP_HANDLER: 0
; COMPUTE_PGM_RSRC2:TGID_X_EN: 1
; COMPUTE_PGM_RSRC2:TGID_Y_EN: 0
; COMPUTE_PGM_RSRC2:TGID_Z_EN: 0
; COMPUTE_PGM_RSRC2:TIDIG_COMP_CNT: 0
	.type	__hip_cuid_b013ef0e509df2bd,@object ; @__hip_cuid_b013ef0e509df2bd
	.section	.bss,"aw",@nobits
	.globl	__hip_cuid_b013ef0e509df2bd
__hip_cuid_b013ef0e509df2bd:
	.byte	0                               ; 0x0
	.size	__hip_cuid_b013ef0e509df2bd, 1

	.ident	"AMD clang version 19.0.0git (https://github.com/RadeonOpenCompute/llvm-project roc-6.4.0 25133 c7fe45cf4b819c5991fe208aaa96edf142730f1d)"
	.section	".note.GNU-stack","",@progbits
	.addrsig
	.addrsig_sym __hip_cuid_b013ef0e509df2bd
	.amdgpu_metadata
---
amdhsa.kernels:
  - .args:
      - .actual_access:  read_only
        .address_space:  global
        .offset:         0
        .size:           8
        .value_kind:     global_buffer
      - .offset:         8
        .size:           8
        .value_kind:     by_value
      - .actual_access:  read_only
        .address_space:  global
        .offset:         16
        .size:           8
        .value_kind:     global_buffer
      - .actual_access:  read_only
        .address_space:  global
        .offset:         24
        .size:           8
        .value_kind:     global_buffer
      - .offset:         32
        .size:           8
        .value_kind:     by_value
      - .actual_access:  read_only
        .address_space:  global
        .offset:         40
        .size:           8
        .value_kind:     global_buffer
      - .actual_access:  read_only
        .address_space:  global
        .offset:         48
        .size:           8
        .value_kind:     global_buffer
      - .offset:         56
        .size:           4
        .value_kind:     by_value
      - .actual_access:  read_only
        .address_space:  global
        .offset:         64
        .size:           8
        .value_kind:     global_buffer
      - .actual_access:  read_only
        .address_space:  global
        .offset:         72
        .size:           8
        .value_kind:     global_buffer
      - .address_space:  global
        .offset:         80
        .size:           8
        .value_kind:     global_buffer
    .group_segment_fixed_size: 0
    .kernarg_segment_align: 8
    .kernarg_segment_size: 88
    .language:       OpenCL C
    .language_version:
      - 2
      - 0
    .max_flat_workgroup_size: 108
    .name:           fft_rtc_fwd_len1728_factors_3_6_6_16_wgs_108_tpt_108_halfLds_half_ip_CI_unitstride_sbrr_R2C_dirReg
    .private_segment_fixed_size: 0
    .sgpr_count:     26
    .sgpr_spill_count: 0
    .symbol:         fft_rtc_fwd_len1728_factors_3_6_6_16_wgs_108_tpt_108_halfLds_half_ip_CI_unitstride_sbrr_R2C_dirReg.kd
    .uniform_work_group_size: 1
    .uses_dynamic_stack: false
    .vgpr_count:     60
    .vgpr_spill_count: 0
    .wavefront_size: 64
amdhsa.target:   amdgcn-amd-amdhsa--gfx906
amdhsa.version:
  - 1
  - 2
...

	.end_amdgpu_metadata
